;; amdgpu-corpus repo=ROCm/rocFFT kind=compiled arch=gfx906 opt=O3
	.text
	.amdgcn_target "amdgcn-amd-amdhsa--gfx906"
	.amdhsa_code_object_version 6
	.protected	bluestein_single_back_len1904_dim1_dp_op_CI_CI ; -- Begin function bluestein_single_back_len1904_dim1_dp_op_CI_CI
	.globl	bluestein_single_back_len1904_dim1_dp_op_CI_CI
	.p2align	8
	.type	bluestein_single_back_len1904_dim1_dp_op_CI_CI,@function
bluestein_single_back_len1904_dim1_dp_op_CI_CI: ; @bluestein_single_back_len1904_dim1_dp_op_CI_CI
; %bb.0:
	s_mov_b64 s[62:63], s[2:3]
	s_mov_b64 s[60:61], s[0:1]
	v_mul_u32_u24_e32 v1, 0x227, v0
	s_add_u32 s60, s60, s7
	v_add_u32_sdwa v3, s6, v1 dst_sel:DWORD dst_unused:UNUSED_PAD src0_sel:DWORD src1_sel:WORD_1
	s_addc_u32 s61, s61, 0
	v_mov_b32_e32 v2, v3
	buffer_store_dword v2, off, s[60:63], 0 ; 4-byte Folded Spill
	s_nop 0
	buffer_store_dword v3, off, s[60:63], 0 offset:4 ; 4-byte Folded Spill
	s_load_dwordx4 s[0:3], s[4:5], 0x28
	v_mov_b32_e32 v4, 0
	s_waitcnt lgkmcnt(0)
	v_cmp_gt_u64_e32 vcc, s[0:1], v[3:4]
	s_and_saveexec_b64 s[0:1], vcc
	s_cbranch_execz .LBB0_23
; %bb.1:
	s_load_dwordx2 s[12:13], s[4:5], 0x0
	s_load_dwordx2 s[14:15], s[4:5], 0x38
	s_movk_i32 s0, 0x77
	v_mul_lo_u16_sdwa v1, v1, s0 dst_sel:DWORD dst_unused:UNUSED_PAD src0_sel:WORD_1 src1_sel:DWORD
	v_sub_u16_e32 v248, v0, v1
	s_movk_i32 s0, 0x70
	v_cmp_gt_u16_e32 vcc, s0, v248
	v_lshlrev_b32_e32 v72, 4, v248
	s_and_saveexec_b64 s[16:17], vcc
	s_cbranch_execz .LBB0_3
; %bb.2:
	s_load_dwordx2 s[0:1], s[4:5], 0x18
	s_waitcnt lgkmcnt(0)
	v_mov_b32_e32 v18, s13
	v_or_b32_e32 v68, 0x380, v248
	s_movk_i32 s6, 0x3000
	v_mov_b32_e32 v69, 0xe00
	s_load_dwordx4 s[8:11], s[0:1], 0x0
	buffer_load_dword v0, off, s[60:63], 0  ; 4-byte Folded Reload
	buffer_load_dword v1, off, s[60:63], 0 offset:4 ; 4-byte Folded Reload
	v_or_b32_e32 v137, 0x700, v248
	s_waitcnt lgkmcnt(0)
	v_mad_u64_u32 v[2:3], s[0:1], s8, v248, 0
	s_waitcnt vmcnt(1)
	v_mov_b32_e32 v4, v0
	s_waitcnt vmcnt(0)
	v_mad_u64_u32 v[0:1], s[0:1], s10, v4, 0
	v_mad_u64_u32 v[4:5], s[0:1], s11, v4, v[1:2]
	v_mad_u64_u32 v[5:6], s[0:1], s9, v248, v[3:4]
	v_mov_b32_e32 v1, v4
	v_lshlrev_b64 v[0:1], 4, v[0:1]
	v_mov_b32_e32 v3, v5
	v_mov_b32_e32 v6, s3
	v_lshlrev_b64 v[2:3], 4, v[2:3]
	v_add_co_u32_e64 v16, s[0:1], s2, v0
	v_addc_co_u32_e64 v17, s[0:1], v6, v1, s[0:1]
	v_add_co_u32_e64 v34, s[0:1], v16, v2
	v_addc_co_u32_e64 v35, s[0:1], v17, v3, s[0:1]
	v_add_co_u32_e64 v121, s[0:1], s12, v72
	s_movk_i32 s2, 0x1000
	v_addc_co_u32_e64 v122, s[0:1], 0, v18, s[0:1]
	v_add_co_u32_e64 v36, s[0:1], s2, v121
	v_addc_co_u32_e64 v37, s[0:1], 0, v122, s[0:1]
	v_mad_u64_u32 v[62:63], s[0:1], s8, v68, 0
	s_movk_i32 s3, 0x2000
	v_add_co_u32_e64 v38, s[2:3], s3, v121
	v_add_co_u32_e64 v70, s[6:7], s6, v121
	global_load_dwordx4 v[0:3], v72, s[12:13]
	global_load_dwordx4 v[4:7], v[34:35], off
	global_load_dwordx4 v[8:11], v72, s[12:13] offset:1792
	global_load_dwordx4 v[12:15], v72, s[12:13] offset:3584
	v_addc_co_u32_e64 v39, s[0:1], 0, v122, s[2:3]
	v_addc_co_u32_e64 v71, s[0:1], 0, v122, s[6:7]
	global_load_dwordx4 v[18:21], v[36:37], off offset:1280
	global_load_dwordx4 v[22:25], v[36:37], off offset:3072
	;; [unrolled: 1-line block ×4, first 2 shown]
	s_mul_i32 s3, s9, 0x700
	s_mul_hi_u32 s6, s8, 0x700
	v_mov_b32_e32 v36, v63
	s_mul_i32 s2, s8, 0x700
	s_add_i32 s3, s6, s3
	v_mad_u64_u32 v[63:64], s[0:1], s9, v68, v[36:37]
	v_mov_b32_e32 v38, s3
	v_add_co_u32_e64 v37, s[0:1], s2, v34
	v_addc_co_u32_e64 v38, s[0:1], v35, v38, s[0:1]
	v_mov_b32_e32 v40, s3
	v_add_co_u32_e64 v39, s[0:1], s2, v37
	v_addc_co_u32_e64 v40, s[0:1], v38, v40, s[0:1]
	;; [unrolled: 3-line block ×6, first 2 shown]
	v_mov_b32_e32 v59, s3
	v_add_co_u32_e64 v66, s[0:1], s2, v57
	v_lshlrev_b64 v[62:63], 4, v[62:63]
	v_addc_co_u32_e64 v67, s[0:1], v58, v59, s[0:1]
	v_add_co_u32_e64 v62, s[0:1], v16, v62
	v_addc_co_u32_e64 v63, s[0:1], v17, v63, s[0:1]
	v_mad_u64_u32 v[85:86], s[0:1], s8, v69, v[66:67]
	s_mul_i32 s0, s9, 0xe00
	global_load_dwordx4 v[34:37], v[37:38], off
	v_add_u32_e32 v86, s0, v86
	global_load_dwordx4 v[42:45], v[45:46], off
	v_mov_b32_e32 v89, s3
	global_load_dwordx4 v[38:41], v[39:40], off
	v_mov_b32_e32 v105, s3
	global_load_dwordx4 v[46:49], v[49:50], off
	s_waitcnt vmcnt(10)
	v_mul_f64 v[141:142], v[6:7], v[2:3]
	global_load_dwordx4 v[50:53], v[53:54], off
	s_nop 0
	global_load_dwordx4 v[54:57], v[57:58], off
	s_nop 0
	global_load_dwordx4 v[58:61], v[66:67], off
	v_lshlrev_b32_e32 v66, 4, v68
	global_load_dwordx4 v[62:65], v[62:63], off
	s_nop 0
	global_load_dwordx4 v[66:69], v66, s[12:13]
	s_nop 0
	global_load_dwordx4 v[73:76], v[85:86], off
	global_load_dwordx4 v[77:80], v[70:71], off offset:256
	global_load_dwordx4 v[81:84], v[70:71], off offset:3840
	v_mov_b32_e32 v71, s3
	v_add_co_u32_e64 v70, s[0:1], s2, v85
	v_addc_co_u32_e64 v71, s[0:1], v86, v71, s[0:1]
	s_movk_i32 s0, 0x4000
	v_add_co_u32_e64 v101, s[0:1], s0, v121
	v_addc_co_u32_e64 v102, s[0:1], 0, v122, s[0:1]
	global_load_dwordx4 v[85:88], v[70:71], off
	v_add_co_u32_e64 v70, s[0:1], s2, v70
	v_addc_co_u32_e64 v71, s[0:1], v71, v89, s[0:1]
	global_load_dwordx4 v[89:92], v[70:71], off
	global_load_dwordx4 v[93:96], v[101:102], off offset:1536
	global_load_dwordx4 v[97:100], v[101:102], off offset:3328
	v_mov_b32_e32 v101, s3
	v_add_co_u32_e64 v70, s[0:1], s2, v70
	v_addc_co_u32_e64 v71, s[0:1], v71, v101, s[0:1]
	s_movk_i32 s0, 0x5000
	v_add_co_u32_e64 v117, s[0:1], s0, v121
	v_addc_co_u32_e64 v118, s[0:1], 0, v122, s[0:1]
	global_load_dwordx4 v[101:104], v[70:71], off
	v_add_co_u32_e64 v70, s[0:1], s2, v70
	v_addc_co_u32_e64 v71, s[0:1], v71, v105, s[0:1]
	global_load_dwordx4 v[105:108], v[70:71], off
	global_load_dwordx4 v[109:112], v[117:118], off offset:1024
	global_load_dwordx4 v[113:116], v[117:118], off offset:2816
	v_mov_b32_e32 v117, s3
	v_add_co_u32_e64 v70, s[0:1], s2, v70
	v_addc_co_u32_e64 v71, s[0:1], v71, v117, s[0:1]
	s_movk_i32 s0, 0x6000
	v_add_co_u32_e64 v129, s[0:1], s0, v121
	v_addc_co_u32_e64 v130, s[0:1], 0, v122, s[0:1]
	v_mad_u64_u32 v[133:134], s[0:1], s8, v137, 0
	global_load_dwordx4 v[117:120], v[70:71], off
	v_mov_b32_e32 v121, s3
	v_add_co_u32_e64 v70, s[0:1], s2, v70
	v_addc_co_u32_e64 v71, s[0:1], v71, v121, s[0:1]
	v_mov_b32_e32 v121, v134
	v_mad_u64_u32 v[134:135], s[0:1], s9, v137, v[121:122]
	global_load_dwordx4 v[121:124], v[70:71], off
	global_load_dwordx4 v[125:128], v[129:130], off offset:512
	s_nop 0
	global_load_dwordx4 v[129:132], v[129:130], off offset:2304
	v_lshlrev_b64 v[70:71], 4, v[133:134]
	v_add_co_u32_e64 v16, s[0:1], v16, v70
	v_addc_co_u32_e64 v17, s[0:1], v17, v71, s[0:1]
	global_load_dwordx4 v[133:136], v[16:17], off
	v_lshlrev_b32_e32 v16, 4, v137
	global_load_dwordx4 v[137:140], v16, s[12:13]
	v_mul_f64 v[16:17], v[4:5], v[2:3]
	v_fma_f64 v[2:3], v[4:5], v[0:1], v[141:142]
	v_fma_f64 v[4:5], v[6:7], v[0:1], -v[16:17]
	s_waitcnt vmcnt(25)
	v_mul_f64 v[0:1], v[36:37], v[10:11]
	s_waitcnt vmcnt(23)
	v_mul_f64 v[6:7], v[38:39], v[14:15]
	;; [unrolled: 2-line block ×3, first 2 shown]
	ds_write_b128 v72, v[2:5]
	v_mul_f64 v[2:3], v[34:35], v[10:11]
	v_mul_f64 v[4:5], v[40:41], v[14:15]
	;; [unrolled: 1-line block ×5, first 2 shown]
	v_fma_f64 v[0:1], v[34:35], v[8:9], v[0:1]
	v_fma_f64 v[6:7], v[40:41], v[12:13], -v[6:7]
	s_waitcnt vmcnt(15)
	v_mul_f64 v[24:25], v[60:61], v[79:80]
	v_fma_f64 v[2:3], v[36:37], v[8:9], -v[2:3]
	v_fma_f64 v[4:5], v[38:39], v[12:13], v[4:5]
	v_fma_f64 v[8:9], v[42:43], v[18:19], v[10:11]
	v_fma_f64 v[10:11], v[44:45], v[18:19], -v[14:15]
	v_fma_f64 v[12:13], v[46:47], v[22:23], v[16:17]
	v_mul_f64 v[16:17], v[52:53], v[28:29]
	v_mul_f64 v[18:19], v[50:51], v[28:29]
	v_fma_f64 v[14:15], v[48:49], v[22:23], -v[20:21]
	v_mul_f64 v[20:21], v[56:57], v[32:33]
	v_mul_f64 v[22:23], v[54:55], v[32:33]
	;; [unrolled: 1-line block ×5, first 2 shown]
	v_fma_f64 v[16:17], v[50:51], v[26:27], v[16:17]
	v_fma_f64 v[18:19], v[52:53], v[26:27], -v[18:19]
	v_fma_f64 v[24:25], v[58:59], v[77:78], v[24:25]
	v_fma_f64 v[20:21], v[54:55], v[30:31], v[20:21]
	v_fma_f64 v[22:23], v[56:57], v[30:31], -v[22:23]
	v_fma_f64 v[26:27], v[60:61], v[77:78], -v[28:29]
	v_fma_f64 v[28:29], v[62:63], v[66:67], v[32:33]
	v_fma_f64 v[30:31], v[64:65], v[66:67], -v[34:35]
	ds_write_b128 v72, v[0:3] offset:1792
	ds_write_b128 v72, v[4:7] offset:3584
	;; [unrolled: 1-line block ×8, first 2 shown]
	s_waitcnt vmcnt(14)
	v_mul_f64 v[0:1], v[75:76], v[83:84]
	v_mul_f64 v[2:3], v[73:74], v[83:84]
	s_waitcnt vmcnt(11)
	v_mul_f64 v[4:5], v[87:88], v[95:96]
	v_mul_f64 v[6:7], v[85:86], v[95:96]
	;; [unrolled: 3-line block ×5, first 2 shown]
	v_fma_f64 v[0:1], v[73:74], v[81:82], v[0:1]
	v_fma_f64 v[2:3], v[75:76], v[81:82], -v[2:3]
	v_fma_f64 v[4:5], v[85:86], v[93:94], v[4:5]
	v_fma_f64 v[6:7], v[87:88], v[93:94], -v[6:7]
	;; [unrolled: 2-line block ×5, first 2 shown]
	s_waitcnt vmcnt(3)
	v_mul_f64 v[20:21], v[119:120], v[127:128]
	v_mul_f64 v[22:23], v[117:118], v[127:128]
	s_waitcnt vmcnt(2)
	v_mul_f64 v[24:25], v[123:124], v[131:132]
	v_mul_f64 v[26:27], v[121:122], v[131:132]
	v_fma_f64 v[20:21], v[117:118], v[125:126], v[20:21]
	v_fma_f64 v[22:23], v[119:120], v[125:126], -v[22:23]
	v_fma_f64 v[24:25], v[121:122], v[129:130], v[24:25]
	s_waitcnt vmcnt(0)
	v_mul_f64 v[28:29], v[135:136], v[139:140]
	v_mul_f64 v[30:31], v[133:134], v[139:140]
	v_fma_f64 v[26:27], v[123:124], v[129:130], -v[26:27]
	v_fma_f64 v[28:29], v[133:134], v[137:138], v[28:29]
	v_fma_f64 v[30:31], v[135:136], v[137:138], -v[30:31]
	ds_write_b128 v72, v[0:3] offset:16128
	ds_write_b128 v72, v[4:7] offset:17920
	;; [unrolled: 1-line block ×8, first 2 shown]
.LBB0_3:
	s_or_b64 exec, exec, s[16:17]
	s_load_dwordx2 s[0:1], s[4:5], 0x20
	s_load_dwordx2 s[8:9], s[4:5], 0x8
	s_waitcnt vmcnt(0) lgkmcnt(0)
	s_barrier
	s_waitcnt lgkmcnt(0)
                                        ; implicit-def: $vgpr0_vgpr1
                                        ; implicit-def: $vgpr60_vgpr61
                                        ; implicit-def: $vgpr4_vgpr5
                                        ; implicit-def: $vgpr8_vgpr9
                                        ; implicit-def: $vgpr12_vgpr13
                                        ; implicit-def: $vgpr20_vgpr21
                                        ; implicit-def: $vgpr32_vgpr33
                                        ; implicit-def: $vgpr48_vgpr49
                                        ; implicit-def: $vgpr56_vgpr57
                                        ; implicit-def: $vgpr52_vgpr53
                                        ; implicit-def: $vgpr44_vgpr45
                                        ; implicit-def: $vgpr40_vgpr41
                                        ; implicit-def: $vgpr36_vgpr37
                                        ; implicit-def: $vgpr24_vgpr25
                                        ; implicit-def: $vgpr16_vgpr17
                                        ; implicit-def: $vgpr64_vgpr65
                                        ; implicit-def: $vgpr68_vgpr69
	s_and_saveexec_b64 s[2:3], vcc
	s_cbranch_execz .LBB0_5
; %bb.4:
	ds_read_b128 v[0:3], v72
	ds_read_b128 v[68:71], v72 offset:1792
	ds_read_b128 v[64:67], v72 offset:3584
	ds_read_b128 v[60:63], v72 offset:5376
	ds_read_b128 v[4:7], v72 offset:7168
	ds_read_b128 v[16:19], v72 offset:8960
	ds_read_b128 v[24:27], v72 offset:10752
	ds_read_b128 v[8:11], v72 offset:12544
	ds_read_b128 v[12:15], v72 offset:14336
	ds_read_b128 v[36:39], v72 offset:16128
	ds_read_b128 v[40:43], v72 offset:17920
	ds_read_b128 v[20:23], v72 offset:19712
	ds_read_b128 v[32:35], v72 offset:21504
	ds_read_b128 v[44:47], v72 offset:23296
	ds_read_b128 v[52:55], v72 offset:25088
	ds_read_b128 v[48:51], v72 offset:26880
	ds_read_b128 v[56:59], v72 offset:28672
.LBB0_5:
	s_or_b64 exec, exec, s[2:3]
	s_waitcnt lgkmcnt(0)
	v_add_f64 v[130:131], v[70:71], -v[58:59]
	v_add_f64 v[134:135], v[68:69], -v[56:57]
	s_mov_b32 s10, 0x5d8e7cdc
	s_mov_b32 s11, 0xbfd71e95
	v_add_f64 v[108:109], v[56:57], v[68:69]
	v_add_f64 v[158:159], v[58:59], v[70:71]
	v_add_f64 v[138:139], v[66:67], -v[50:51]
	v_add_f64 v[140:141], v[64:65], -v[48:49]
	v_mul_f64 v[110:111], v[130:131], s[10:11]
	v_mul_f64 v[112:113], v[134:135], s[10:11]
	s_mov_b32 s2, 0x370991
	s_mov_b32 s24, 0x2a9d6da3
	;; [unrolled: 1-line block ×4, first 2 shown]
	v_add_f64 v[114:115], v[48:49], v[64:65]
	v_add_f64 v[164:165], v[50:51], v[66:67]
	v_fma_f64 v[28:29], v[108:109], s[2:3], v[110:111]
	v_fma_f64 v[30:31], v[158:159], s[2:3], -v[112:113]
	v_mul_f64 v[116:117], v[138:139], s[24:25]
	v_mul_f64 v[118:119], v[140:141], s[24:25]
	v_add_f64 v[146:147], v[62:63], -v[54:55]
	v_add_f64 v[150:151], v[60:61], -v[52:53]
	s_mov_b32 s6, 0x75d4884
	s_mov_b32 s20, 0x7c9e640b
	s_mov_b32 s7, 0x3fe7a5f6
	s_mov_b32 s21, 0xbfeca52d
	v_add_f64 v[28:29], v[0:1], v[28:29]
	v_add_f64 v[30:31], v[2:3], v[30:31]
	v_fma_f64 v[73:74], v[114:115], s[6:7], v[116:117]
	v_fma_f64 v[75:76], v[164:165], s[6:7], -v[118:119]
	v_add_f64 v[120:121], v[60:61], v[52:53]
	v_add_f64 v[176:177], v[62:63], v[54:55]
	v_mul_f64 v[122:123], v[146:147], s[20:21]
	v_mul_f64 v[124:125], v[150:151], s[20:21]
	v_add_f64 v[160:161], v[6:7], -v[46:47]
	v_add_f64 v[156:157], v[4:5], -v[44:45]
	s_mov_b32 s4, 0x2b2883cd
	s_mov_b32 s30, 0xeb564b22
	s_mov_b32 s5, 0x3fdc86fa
	s_mov_b32 s31, 0xbfefdd0d
	v_add_f64 v[28:29], v[73:74], v[28:29]
	v_add_f64 v[30:31], v[75:76], v[30:31]
	v_fma_f64 v[73:74], v[120:121], s[4:5], v[122:123]
	v_fma_f64 v[75:76], v[176:177], s[4:5], -v[124:125]
	v_add_f64 v[126:127], v[4:5], v[44:45]
	v_add_f64 v[184:185], v[6:7], v[46:47]
	;; [unrolled: 14-line block ×6, first 2 shown]
	v_mul_f64 v[178:179], v[198:199], s[42:43]
	v_mul_f64 v[182:183], v[196:197], s[42:43]
	s_mov_b32 s38, 0x7faef3
	s_mov_b32 s39, 0xbfef7484
	v_add_f64 v[28:29], v[73:74], v[28:29]
	v_add_f64 v[30:31], v[75:76], v[30:31]
	s_barrier
	v_fma_f64 v[73:74], v[172:173], s[38:39], v[178:179]
	v_fma_f64 v[75:76], v[202:203], s[38:39], -v[182:183]
	v_add_f64 v[28:29], v[73:74], v[28:29]
	v_add_f64 v[30:31], v[75:76], v[30:31]
	s_and_saveexec_b64 s[16:17], vcc
	s_cbranch_execz .LBB0_7
; %bb.6:
	v_mul_f64 v[73:74], v[158:159], s[38:39]
	s_mov_b32 s49, 0x3fc7851a
	s_mov_b32 s48, s42
	v_mul_f64 v[79:80], v[164:165], s[2:3]
	v_mul_f64 v[87:88], v[176:177], s[34:35]
	;; [unrolled: 1-line block ×3, first 2 shown]
	s_mov_b32 s47, 0x3fe0d888
	s_mov_b32 s46, s40
	v_fma_f64 v[81:82], v[134:135], s[48:49], v[73:74]
	s_mov_b32 s51, 0x3fd71e95
	s_mov_b32 s50, s10
	v_fma_f64 v[91:92], v[140:141], s[10:11], v[79:80]
	v_mul_f64 v[89:90], v[184:185], s[6:7]
	v_fma_f64 v[95:96], v[150:151], s[46:47], v[87:88]
	v_fma_f64 v[97:98], v[108:109], s[38:39], v[93:94]
	;; [unrolled: 1-line block ×3, first 2 shown]
	v_add_f64 v[81:82], v[2:3], v[81:82]
	v_mul_f64 v[85:86], v[188:189], s[26:27]
	v_fma_f64 v[93:94], v[108:109], s[38:39], -v[93:94]
	v_fma_f64 v[79:80], v[140:141], s[50:51], v[79:80]
	v_fma_f64 v[101:102], v[156:157], s[24:25], v[89:90]
	s_mov_b32 s55, 0x3fe9895b
	v_add_f64 v[97:98], v[0:1], v[97:98]
	v_add_f64 v[73:74], v[2:3], v[73:74]
	;; [unrolled: 1-line block ×3, first 2 shown]
	v_mul_f64 v[91:92], v[138:139], s[50:51]
	s_mov_b32 s54, s36
	s_mov_b32 s57, 0x3fe58eea
	;; [unrolled: 1-line block ×3, first 2 shown]
	v_mul_f64 v[83:84], v[194:195], s[4:5]
	v_mul_f64 v[204:205], v[160:161], s[56:57]
	v_fma_f64 v[206:207], v[168:169], s[54:55], v[85:86]
	v_add_f64 v[81:82], v[95:96], v[81:82]
	v_mul_f64 v[95:96], v[146:147], s[40:41]
	v_fma_f64 v[103:104], v[114:115], s[2:3], v[91:92]
	v_fma_f64 v[91:92], v[114:115], s[2:3], -v[91:92]
	v_add_f64 v[93:94], v[0:1], v[93:94]
	v_fma_f64 v[87:88], v[150:151], s[40:41], v[87:88]
	v_add_f64 v[73:74], v[79:80], v[73:74]
	v_mul_f64 v[99:100], v[174:175], s[36:37]
	v_add_f64 v[81:82], v[101:102], v[81:82]
	v_fma_f64 v[101:102], v[120:121], s[34:35], v[95:96]
	v_add_f64 v[97:98], v[103:104], v[97:98]
	v_fma_f64 v[103:104], v[180:181], s[20:21], v[83:84]
	v_fma_f64 v[208:209], v[126:127], s[6:7], v[204:205]
	v_fma_f64 v[95:96], v[120:121], s[34:35], -v[95:96]
	v_add_f64 v[91:92], v[91:92], v[93:94]
	v_fma_f64 v[89:90], v[156:157], s[56:57], v[89:90]
	v_add_f64 v[81:82], v[206:207], v[81:82]
	v_add_f64 v[73:74], v[87:88], v[73:74]
	;; [unrolled: 1-line block ×3, first 2 shown]
	s_mov_b32 s53, 0x3feca52d
	s_mov_b32 s52, s20
	v_mul_f64 v[77:78], v[200:201], s[18:19]
	v_mul_f64 v[105:106], v[186:187], s[52:53]
	v_fma_f64 v[101:102], v[136:137], s[26:27], v[99:100]
	v_add_f64 v[81:82], v[103:104], v[81:82]
	v_fma_f64 v[103:104], v[126:127], s[6:7], -v[204:205]
	v_add_f64 v[93:94], v[208:209], v[97:98]
	v_add_f64 v[91:92], v[95:96], v[91:92]
	v_fma_f64 v[85:86], v[168:169], s[36:37], v[85:86]
	v_add_f64 v[73:74], v[89:90], v[73:74]
	s_mov_b32 s45, 0x3feec746
	s_mov_b32 s44, s28
	v_mul_f64 v[75:76], v[202:203], s[22:23]
	v_fma_f64 v[79:80], v[190:191], s[44:45], v[77:78]
	v_mul_f64 v[87:88], v[192:193], s[28:29]
	v_fma_f64 v[97:98], v[148:149], s[4:5], v[105:106]
	v_add_f64 v[93:94], v[101:102], v[93:94]
	v_fma_f64 v[99:100], v[136:137], s[26:27], -v[99:100]
	v_add_f64 v[91:92], v[103:104], v[91:92]
	v_fma_f64 v[83:84], v[180:181], s[52:53], v[83:84]
	v_add_f64 v[73:74], v[85:86], v[73:74]
	s_mov_b32 s59, 0x3fefdd0d
	s_mov_b32 s58, s30
	v_mul_f64 v[89:90], v[198:199], s[58:59]
	v_fma_f64 v[95:96], v[162:163], s[18:19], v[87:88]
	v_add_f64 v[93:94], v[97:98], v[93:94]
	v_fma_f64 v[85:86], v[196:197], s[30:31], v[75:76]
	v_add_f64 v[79:80], v[79:80], v[81:82]
	v_fma_f64 v[97:98], v[148:149], s[4:5], -v[105:106]
	v_add_f64 v[91:92], v[99:100], v[91:92]
	v_fma_f64 v[77:78], v[190:191], s[28:29], v[77:78]
	v_add_f64 v[73:74], v[83:84], v[73:74]
	v_fma_f64 v[81:82], v[172:173], s[22:23], v[89:90]
	v_add_f64 v[93:94], v[95:96], v[93:94]
	v_mul_f64 v[101:102], v[138:139], s[52:53]
	v_add_f64 v[206:207], v[85:86], v[79:80]
	v_fma_f64 v[79:80], v[162:163], s[18:19], -v[87:88]
	v_add_f64 v[83:84], v[97:98], v[91:92]
	v_mul_f64 v[91:92], v[164:165], s[4:5]
	v_add_f64 v[73:74], v[77:78], v[73:74]
	v_mul_f64 v[77:78], v[158:159], s[34:35]
	;; [unrolled: 2-line block ×3, first 2 shown]
	v_mul_f64 v[210:211], v[184:185], s[26:27]
	v_mul_f64 v[214:215], v[146:147], s[30:31]
	v_add_f64 v[79:80], v[79:80], v[83:84]
	v_mul_f64 v[83:84], v[130:131], s[40:41]
	v_fma_f64 v[208:209], v[140:141], s[20:21], v[91:92]
	v_fma_f64 v[93:94], v[134:135], s[46:47], v[77:78]
	;; [unrolled: 1-line block ×5, first 2 shown]
	v_mul_f64 v[97:98], v[188:189], s[2:3]
	v_mul_f64 v[220:221], v[160:161], s[54:55]
	v_fma_f64 v[103:104], v[108:109], s[34:35], v[83:84]
	v_fma_f64 v[83:84], v[108:109], s[34:35], -v[83:84]
	v_add_f64 v[93:94], v[2:3], v[93:94]
	v_fma_f64 v[222:223], v[120:121], s[22:23], v[214:215]
	v_fma_f64 v[91:92], v[140:141], s[52:53], v[91:92]
	v_add_f64 v[77:78], v[2:3], v[77:78]
	v_fma_f64 v[101:102], v[114:115], s[4:5], -v[101:102]
	v_mul_f64 v[87:88], v[194:195], s[38:39]
	v_add_f64 v[103:104], v[0:1], v[103:104]
	v_add_f64 v[83:84], v[0:1], v[83:84]
	;; [unrolled: 1-line block ×3, first 2 shown]
	v_fma_f64 v[208:209], v[156:157], s[36:37], v[210:211]
	v_fma_f64 v[212:213], v[168:169], s[50:51], v[97:98]
	;; [unrolled: 1-line block ×3, first 2 shown]
	v_add_f64 v[77:78], v[91:92], v[77:78]
	v_fma_f64 v[99:100], v[180:181], s[48:49], v[87:88]
	v_add_f64 v[103:104], v[216:217], v[103:104]
	v_mul_f64 v[216:217], v[174:175], s[10:11]
	v_add_f64 v[93:94], v[218:219], v[93:94]
	v_fma_f64 v[218:219], v[126:127], s[26:27], v[220:221]
	v_add_f64 v[83:84], v[101:102], v[83:84]
	v_mul_f64 v[101:102], v[186:187], s[42:43]
	v_add_f64 v[77:78], v[105:106], v[77:78]
	v_fma_f64 v[105:106], v[126:127], s[26:27], -v[220:221]
	v_add_f64 v[103:104], v[222:223], v[103:104]
	v_mul_f64 v[81:82], v[200:201], s[6:7]
	v_add_f64 v[91:92], v[208:209], v[93:94]
	v_fma_f64 v[93:94], v[120:121], s[22:23], -v[214:215]
	v_fma_f64 v[208:209], v[136:137], s[2:3], v[216:217]
	v_fma_f64 v[210:211], v[156:157], s[54:55], v[210:211]
	;; [unrolled: 1-line block ×4, first 2 shown]
	v_add_f64 v[103:104], v[218:219], v[103:104]
	v_fma_f64 v[95:96], v[190:191], s[24:25], v[81:82]
	v_add_f64 v[91:92], v[212:213], v[91:92]
	v_add_f64 v[83:84], v[93:94], v[83:84]
	v_mul_f64 v[93:94], v[192:193], s[56:57]
	v_fma_f64 v[212:213], v[148:149], s[38:39], v[101:102]
	v_add_f64 v[77:78], v[210:211], v[77:78]
	v_fma_f64 v[101:102], v[148:149], s[38:39], -v[101:102]
	v_add_f64 v[103:104], v[208:209], v[103:104]
	v_fma_f64 v[85:86], v[172:173], s[22:23], -v[89:90]
	;; [unrolled: 2-line block ×3, first 2 shown]
	v_add_f64 v[83:84], v[105:106], v[83:84]
	v_mul_f64 v[105:106], v[198:199], s[28:29]
	v_fma_f64 v[208:209], v[162:163], s[6:7], v[93:94]
	v_mul_f64 v[89:90], v[202:203], s[18:19]
	v_add_f64 v[103:104], v[212:213], v[103:104]
	v_fma_f64 v[87:88], v[180:181], s[42:43], v[87:88]
	v_add_f64 v[77:78], v[97:98], v[77:78]
	v_add_f64 v[91:92], v[95:96], v[91:92]
	;; [unrolled: 1-line block ×3, first 2 shown]
	v_fma_f64 v[95:96], v[172:173], s[18:19], v[105:106]
	v_mul_f64 v[212:213], v[176:177], s[2:3]
	v_fma_f64 v[97:98], v[196:197], s[44:45], v[89:90]
	v_add_f64 v[103:104], v[208:209], v[103:104]
	v_fma_f64 v[208:209], v[190:191], s[56:57], v[81:82]
	v_add_f64 v[82:83], v[75:76], v[73:74]
	v_fma_f64 v[73:74], v[162:163], s[6:7], -v[93:94]
	v_add_f64 v[93:94], v[101:102], v[99:100]
	v_add_f64 v[87:88], v[87:88], v[77:78]
	;; [unrolled: 1-line block ×5, first 2 shown]
	v_fma_f64 v[84:85], v[196:197], s[28:29], v[89:90]
	v_fma_f64 v[90:91], v[172:173], s[18:19], -v[105:106]
	v_mul_f64 v[104:105], v[130:131], s[36:37]
	v_add_f64 v[73:74], v[73:74], v[93:94]
	v_mul_f64 v[94:95], v[158:159], s[26:27]
	v_mul_f64 v[106:107], v[164:165], s[18:19]
	;; [unrolled: 1-line block ×4, first 2 shown]
	v_fma_f64 v[224:225], v[150:151], s[50:51], v[212:213]
	v_mul_f64 v[226:227], v[146:147], s[10:11]
	v_fma_f64 v[220:221], v[108:109], s[26:27], v[104:105]
	v_fma_f64 v[104:105], v[108:109], s[26:27], -v[104:105]
	v_fma_f64 v[210:211], v[134:135], s[54:55], v[94:95]
	v_fma_f64 v[222:223], v[140:141], s[28:29], v[106:107]
	;; [unrolled: 1-line block ×5, first 2 shown]
	v_fma_f64 v[218:219], v[114:115], s[18:19], -v[218:219]
	v_mul_f64 v[98:99], v[188:189], s[22:23]
	v_add_f64 v[104:105], v[0:1], v[104:105]
	v_add_f64 v[210:211], v[2:3], v[210:211]
	v_fma_f64 v[216:217], v[156:157], s[46:47], v[100:101]
	v_add_f64 v[94:95], v[2:3], v[94:95]
	v_add_f64 v[220:221], v[0:1], v[220:221]
	v_fma_f64 v[212:213], v[150:151], s[10:11], v[212:213]
	v_mul_f64 v[92:93], v[194:195], s[6:7]
	v_fma_f64 v[214:215], v[168:169], s[30:31], v[98:99]
	v_add_f64 v[104:105], v[218:219], v[104:105]
	v_add_f64 v[210:211], v[222:223], v[210:211]
	v_mul_f64 v[222:223], v[160:161], s[40:41]
	v_add_f64 v[94:95], v[106:107], v[94:95]
	v_fma_f64 v[230:231], v[120:121], s[2:3], v[226:227]
	v_add_f64 v[220:221], v[228:229], v[220:221]
	v_mul_f64 v[218:219], v[174:175], s[58:59]
	v_fma_f64 v[100:101], v[156:157], s[40:41], v[100:101]
	v_add_f64 v[86:87], v[208:209], v[87:88]
	v_add_f64 v[106:107], v[224:225], v[210:211]
	v_fma_f64 v[210:211], v[120:121], s[2:3], -v[226:227]
	v_add_f64 v[94:95], v[212:213], v[94:95]
	v_fma_f64 v[212:213], v[126:127], s[34:35], -v[222:223]
	v_fma_f64 v[208:209], v[180:181], s[56:57], v[92:93]
	v_fma_f64 v[224:225], v[126:127], s[34:35], v[222:223]
	v_add_f64 v[220:221], v[230:231], v[220:221]
	v_fma_f64 v[98:99], v[168:169], s[58:59], v[98:99]
	v_add_f64 v[106:107], v[216:217], v[106:107]
	v_add_f64 v[104:105], v[210:211], v[104:105]
	v_mul_f64 v[210:211], v[186:187], s[24:25]
	v_add_f64 v[94:95], v[100:101], v[94:95]
	v_mul_f64 v[88:89], v[200:201], s[38:39]
	v_fma_f64 v[216:217], v[136:137], s[22:23], v[218:219]
	v_add_f64 v[220:221], v[224:225], v[220:221]
	v_fma_f64 v[92:93], v[180:181], s[24:25], v[92:93]
	v_add_f64 v[100:101], v[214:215], v[106:107]
	v_fma_f64 v[106:107], v[136:137], s[22:23], -v[218:219]
	v_add_f64 v[104:105], v[212:213], v[104:105]
	v_mul_f64 v[212:213], v[192:193], s[42:43]
	v_add_f64 v[94:95], v[98:99], v[94:95]
	v_mul_f64 v[96:97], v[202:203], s[4:5]
	v_fma_f64 v[102:103], v[190:191], s[48:49], v[88:89]
	v_fma_f64 v[214:215], v[148:149], s[6:7], v[210:211]
	v_add_f64 v[98:99], v[208:209], v[100:101]
	v_fma_f64 v[100:101], v[148:149], s[6:7], -v[210:211]
	v_add_f64 v[104:105], v[106:107], v[104:105]
	v_add_f64 v[216:217], v[216:217], v[220:221]
	v_mul_f64 v[106:107], v[198:199], s[52:53]
	v_fma_f64 v[208:209], v[162:163], s[38:39], v[212:213]
	v_fma_f64 v[88:89], v[190:191], s[42:43], v[88:89]
	v_add_f64 v[92:93], v[92:93], v[94:95]
	v_fma_f64 v[212:213], v[162:163], s[38:39], -v[212:213]
	v_fma_f64 v[94:95], v[196:197], s[20:21], v[96:97]
	v_add_f64 v[100:101], v[100:101], v[104:105]
	v_add_f64 v[210:211], v[214:215], v[216:217]
	;; [unrolled: 1-line block ×3, first 2 shown]
	v_fma_f64 v[102:103], v[172:173], s[4:5], v[106:107]
	v_fma_f64 v[96:97], v[196:197], s[52:53], v[96:97]
	v_add_f64 v[92:93], v[88:89], v[92:93]
	v_fma_f64 v[106:107], v[172:173], s[4:5], -v[106:107]
	v_add_f64 v[86:87], v[84:85], v[86:87]
	v_add_f64 v[100:101], v[212:213], v[100:101]
	;; [unrolled: 1-line block ×4, first 2 shown]
	v_mul_f64 v[73:74], v[158:159], s[18:19]
	v_add_f64 v[90:91], v[94:95], v[98:99]
	v_add_f64 v[94:95], v[96:97], v[92:93]
	v_mul_f64 v[98:99], v[164:165], s[34:35]
	v_mul_f64 v[214:215], v[138:139], s[46:47]
	v_add_f64 v[92:93], v[106:107], v[100:101]
	v_mul_f64 v[100:101], v[130:131], s[28:29]
	v_add_f64 v[88:89], v[102:103], v[104:105]
	v_fma_f64 v[102:103], v[134:135], s[44:45], v[73:74]
	v_mul_f64 v[208:209], v[176:177], s[6:7]
	v_fma_f64 v[73:74], v[134:135], s[28:29], v[73:74]
	v_fma_f64 v[212:213], v[140:141], s[40:41], v[98:99]
	v_mul_f64 v[224:225], v[146:147], s[56:57]
	v_fma_f64 v[226:227], v[114:115], s[34:35], v[214:215]
	v_fma_f64 v[216:217], v[108:109], s[18:19], v[100:101]
	v_mul_f64 v[220:221], v[184:185], s[4:5]
	v_add_f64 v[102:103], v[2:3], v[102:103]
	v_fma_f64 v[222:223], v[150:151], s[24:25], v[208:209]
	v_fma_f64 v[98:99], v[140:141], s[46:47], v[98:99]
	v_add_f64 v[73:74], v[2:3], v[73:74]
	v_mul_f64 v[230:231], v[160:161], s[20:21]
	v_fma_f64 v[232:233], v[120:121], s[6:7], v[224:225]
	v_add_f64 v[216:217], v[0:1], v[216:217]
	v_fma_f64 v[228:229], v[156:157], s[52:53], v[220:221]
	v_add_f64 v[102:103], v[212:213], v[102:103]
	v_mul_f64 v[212:213], v[188:189], s[38:39]
	v_fma_f64 v[208:209], v[150:151], s[56:57], v[208:209]
	v_fma_f64 v[100:101], v[108:109], s[18:19], -v[100:101]
	v_add_f64 v[73:74], v[98:99], v[73:74]
	v_mul_f64 v[98:99], v[174:175], s[42:43]
	v_add_f64 v[216:217], v[226:227], v[216:217]
	v_fma_f64 v[226:227], v[126:127], s[4:5], v[230:231]
	v_add_f64 v[102:103], v[222:223], v[102:103]
	v_mul_f64 v[104:105], v[194:195], s[22:23]
	v_fma_f64 v[222:223], v[168:169], s[48:49], v[212:213]
	v_fma_f64 v[220:221], v[156:157], s[20:21], v[220:221]
	v_fma_f64 v[214:215], v[114:115], s[34:35], -v[214:215]
	v_add_f64 v[100:101], v[0:1], v[100:101]
	v_add_f64 v[216:217], v[232:233], v[216:217]
	;; [unrolled: 1-line block ×4, first 2 shown]
	v_mul_f64 v[208:209], v[186:187], s[58:59]
	v_fma_f64 v[228:229], v[136:137], s[38:39], v[98:99]
	v_mul_f64 v[96:97], v[200:201], s[2:3]
	v_fma_f64 v[218:219], v[180:181], s[30:31], v[104:105]
	v_fma_f64 v[212:213], v[168:169], s[42:43], v[212:213]
	v_add_f64 v[216:217], v[226:227], v[216:217]
	v_add_f64 v[100:101], v[214:215], v[100:101]
	;; [unrolled: 1-line block ×3, first 2 shown]
	v_fma_f64 v[222:223], v[120:121], s[6:7], -v[224:225]
	v_add_f64 v[73:74], v[220:221], v[73:74]
	v_mul_f64 v[214:215], v[192:193], s[10:11]
	v_fma_f64 v[220:221], v[148:149], s[22:23], v[208:209]
	v_fma_f64 v[210:211], v[190:191], s[50:51], v[96:97]
	v_add_f64 v[216:217], v[228:229], v[216:217]
	v_fma_f64 v[104:105], v[180:181], s[58:59], v[104:105]
	v_add_f64 v[102:103], v[218:219], v[102:103]
	v_fma_f64 v[218:219], v[126:127], s[4:5], -v[230:231]
	v_add_f64 v[100:101], v[222:223], v[100:101]
	v_add_f64 v[73:74], v[212:213], v[73:74]
	v_mul_f64 v[212:213], v[198:199], s[36:37]
	v_fma_f64 v[222:223], v[162:163], s[2:3], v[214:215]
	v_add_f64 v[216:217], v[220:221], v[216:217]
	v_mul_f64 v[106:107], v[202:203], s[26:27]
	v_fma_f64 v[96:97], v[190:191], s[10:11], v[96:97]
	v_fma_f64 v[98:99], v[136:137], s[38:39], -v[98:99]
	v_add_f64 v[100:101], v[218:219], v[100:101]
	v_add_f64 v[73:74], v[104:105], v[73:74]
	;; [unrolled: 1-line block ×3, first 2 shown]
	v_fma_f64 v[104:105], v[172:173], s[26:27], v[212:213]
	v_add_f64 v[210:211], v[222:223], v[216:217]
	v_fma_f64 v[220:221], v[196:197], s[54:55], v[106:107]
	v_mul_f64 v[216:217], v[158:159], s[22:23]
	v_fma_f64 v[208:209], v[148:149], s[22:23], -v[208:209]
	v_add_f64 v[100:101], v[98:99], v[100:101]
	v_add_f64 v[73:74], v[96:97], v[73:74]
	v_fma_f64 v[106:107], v[196:197], s[36:37], v[106:107]
	v_mul_f64 v[218:219], v[164:165], s[38:39]
	v_add_f64 v[96:97], v[104:105], v[210:211]
	v_mul_f64 v[104:105], v[130:131], s[30:31]
	v_add_f64 v[98:99], v[220:221], v[102:103]
	v_fma_f64 v[210:211], v[134:135], s[58:59], v[216:217]
	v_add_f64 v[100:101], v[208:209], v[100:101]
	v_mul_f64 v[208:209], v[138:139], s[42:43]
	v_fma_f64 v[214:215], v[162:163], s[2:3], -v[214:215]
	v_add_f64 v[102:103], v[106:107], v[73:74]
	v_mul_f64 v[73:74], v[176:177], s[18:19]
	v_fma_f64 v[220:221], v[108:109], s[22:23], v[104:105]
	v_fma_f64 v[106:107], v[140:141], s[48:49], v[218:219]
	v_add_f64 v[210:211], v[2:3], v[210:211]
	v_mul_f64 v[224:225], v[146:147], s[44:45]
	v_fma_f64 v[226:227], v[114:115], s[38:39], v[208:209]
	v_add_f64 v[100:101], v[214:215], v[100:101]
	v_mul_f64 v[214:215], v[184:185], s[2:3]
	v_fma_f64 v[222:223], v[150:151], s[28:29], v[73:74]
	v_add_f64 v[220:221], v[0:1], v[220:221]
	v_fma_f64 v[216:217], v[134:135], s[30:31], v[216:217]
	v_add_f64 v[106:107], v[106:107], v[210:211]
	v_mul_f64 v[232:233], v[160:161], s[50:51]
	v_fma_f64 v[234:235], v[120:121], s[18:19], v[224:225]
	v_mul_f64 v[228:229], v[188:189], s[4:5]
	v_fma_f64 v[230:231], v[156:157], s[10:11], v[214:215]
	v_fma_f64 v[218:219], v[140:141], s[42:43], v[218:219]
	v_add_f64 v[220:221], v[226:227], v[220:221]
	v_add_f64 v[216:217], v[2:3], v[216:217]
	;; [unrolled: 1-line block ×3, first 2 shown]
	v_mul_f64 v[236:237], v[174:175], s[20:21]
	v_fma_f64 v[238:239], v[126:127], s[2:3], v[232:233]
	v_mul_f64 v[222:223], v[194:195], s[34:35]
	v_fma_f64 v[226:227], v[168:169], s[52:53], v[228:229]
	v_fma_f64 v[73:74], v[150:151], s[44:45], v[73:74]
	v_add_f64 v[220:221], v[234:235], v[220:221]
	v_add_f64 v[216:217], v[218:219], v[216:217]
	;; [unrolled: 1-line block ×3, first 2 shown]
	v_mul_f64 v[218:219], v[186:187], s[40:41]
	v_fma_f64 v[240:241], v[136:137], s[4:5], v[236:237]
	v_fma_f64 v[104:105], v[108:109], s[22:23], -v[104:105]
	v_fma_f64 v[234:235], v[180:181], s[46:47], v[222:223]
	v_fma_f64 v[214:215], v[156:157], s[50:51], v[214:215]
	v_add_f64 v[220:221], v[238:239], v[220:221]
	v_add_f64 v[73:74], v[73:74], v[216:217]
	;; [unrolled: 1-line block ×3, first 2 shown]
	v_mul_f64 v[216:217], v[192:193], s[54:55]
	v_fma_f64 v[238:239], v[148:149], s[34:35], v[218:219]
	v_fma_f64 v[208:209], v[114:115], s[38:39], -v[208:209]
	v_add_f64 v[104:105], v[0:1], v[104:105]
	v_fma_f64 v[212:213], v[172:173], s[26:27], -v[212:213]
	v_add_f64 v[220:221], v[240:241], v[220:221]
	v_mul_f64 v[230:231], v[200:201], s[26:27]
	v_add_f64 v[106:107], v[234:235], v[106:107]
	v_fma_f64 v[228:229], v[168:169], s[20:21], v[228:229]
	v_add_f64 v[73:74], v[214:215], v[73:74]
	v_mul_f64 v[214:215], v[198:199], s[56:57]
	v_fma_f64 v[234:235], v[162:163], s[26:27], v[216:217]
	v_fma_f64 v[224:225], v[120:121], s[18:19], -v[224:225]
	v_add_f64 v[220:221], v[238:239], v[220:221]
	v_add_f64 v[104:105], v[208:209], v[104:105]
	v_fma_f64 v[226:227], v[190:191], s[36:37], v[230:231]
	v_fma_f64 v[208:209], v[180:181], s[40:41], v[222:223]
	v_add_f64 v[73:74], v[228:229], v[73:74]
	v_fma_f64 v[222:223], v[172:173], s[6:7], v[214:215]
	v_add_f64 v[100:101], v[212:213], v[100:101]
	v_fma_f64 v[212:213], v[126:127], s[2:3], -v[232:233]
	v_add_f64 v[220:221], v[234:235], v[220:221]
	v_add_f64 v[224:225], v[224:225], v[104:105]
	;; [unrolled: 1-line block ×3, first 2 shown]
	v_fma_f64 v[226:227], v[190:191], s[54:55], v[230:231]
	v_add_f64 v[73:74], v[208:209], v[73:74]
	v_mul_f64 v[228:229], v[158:159], s[4:5]
	v_fma_f64 v[208:209], v[136:137], s[4:5], -v[236:237]
	v_mul_f64 v[210:211], v[202:203], s[6:7]
	v_add_f64 v[104:105], v[222:223], v[220:221]
	v_mul_f64 v[220:221], v[130:131], s[20:21]
	v_add_f64 v[212:213], v[212:213], v[224:225]
	;; [unrolled: 2-line block ×3, first 2 shown]
	v_fma_f64 v[224:225], v[134:135], s[52:53], v[228:229]
	v_fma_f64 v[218:219], v[148:149], s[34:35], -v[218:219]
	v_mul_f64 v[226:227], v[138:139], s[36:37]
	v_fma_f64 v[238:239], v[196:197], s[24:25], v[210:211]
	v_fma_f64 v[230:231], v[108:109], s[4:5], v[220:221]
	v_add_f64 v[208:209], v[208:209], v[212:213]
	v_fma_f64 v[212:213], v[162:163], s[26:27], -v[216:217]
	v_mul_f64 v[216:217], v[176:177], s[38:39]
	v_fma_f64 v[232:233], v[140:141], s[54:55], v[222:223]
	v_add_f64 v[224:225], v[2:3], v[224:225]
	v_mul_f64 v[234:235], v[146:147], s[48:49]
	v_fma_f64 v[236:237], v[114:115], s[26:27], v[226:227]
	v_add_f64 v[230:231], v[0:1], v[230:231]
	v_add_f64 v[208:209], v[218:219], v[208:209]
	v_add_f64 v[106:107], v[238:239], v[106:107]
	v_fma_f64 v[210:211], v[196:197], s[56:57], v[210:211]
	v_fma_f64 v[214:215], v[172:173], s[6:7], -v[214:215]
	v_mul_f64 v[218:219], v[184:185], s[18:19]
	v_fma_f64 v[238:239], v[150:151], s[42:43], v[216:217]
	v_add_f64 v[224:225], v[232:233], v[224:225]
	v_mul_f64 v[232:233], v[160:161], s[44:45]
	v_fma_f64 v[240:241], v[120:121], s[38:39], v[234:235]
	v_add_f64 v[230:231], v[236:237], v[230:231]
	v_add_f64 v[208:209], v[212:213], v[208:209]
	v_fma_f64 v[220:221], v[108:109], s[4:5], -v[220:221]
	v_add_f64 v[70:71], v[2:3], v[70:71]
	v_add_f64 v[68:69], v[0:1], v[68:69]
	;; [unrolled: 1-line block ×3, first 2 shown]
	v_mul_f64 v[73:74], v[188:189], s[6:7]
	v_fma_f64 v[212:213], v[156:157], s[28:29], v[218:219]
	v_add_f64 v[224:225], v[238:239], v[224:225]
	v_mul_f64 v[236:237], v[174:175], s[56:57]
	v_fma_f64 v[238:239], v[126:127], s[18:19], v[232:233]
	v_add_f64 v[230:231], v[240:241], v[230:231]
	v_add_f64 v[208:209], v[214:215], v[208:209]
	v_fma_f64 v[214:215], v[134:135], s[20:21], v[228:229]
	v_fma_f64 v[226:227], v[114:115], s[26:27], -v[226:227]
	v_add_f64 v[220:221], v[0:1], v[220:221]
	v_add_f64 v[66:67], v[66:67], v[70:71]
	;; [unrolled: 1-line block ×3, first 2 shown]
	v_mul_f64 v[240:241], v[194:195], s[2:3]
	v_fma_f64 v[228:229], v[168:169], s[24:25], v[73:74]
	v_add_f64 v[212:213], v[212:213], v[224:225]
	v_fma_f64 v[242:243], v[136:137], s[6:7], v[236:237]
	v_add_f64 v[230:231], v[238:239], v[230:231]
	v_mul_f64 v[238:239], v[186:187], s[10:11]
	v_fma_f64 v[222:223], v[140:141], s[36:37], v[222:223]
	v_add_f64 v[214:215], v[2:3], v[214:215]
	v_add_f64 v[220:221], v[226:227], v[220:221]
	v_fma_f64 v[234:235], v[120:121], s[38:39], -v[234:235]
	v_add_f64 v[62:63], v[62:63], v[66:67]
	v_add_f64 v[64:65], v[60:61], v[64:65]
	v_mul_f64 v[224:225], v[200:201], s[22:23]
	v_fma_f64 v[244:245], v[180:181], s[50:51], v[240:241]
	v_add_f64 v[212:213], v[228:229], v[212:213]
	v_mul_f64 v[228:229], v[192:193], s[30:31]
	v_add_f64 v[230:231], v[242:243], v[230:231]
	v_fma_f64 v[242:243], v[148:149], s[2:3], v[238:239]
	v_fma_f64 v[216:217], v[150:151], s[48:49], v[216:217]
	v_add_f64 v[214:215], v[222:223], v[214:215]
	v_add_f64 v[220:221], v[234:235], v[220:221]
	v_fma_f64 v[232:233], v[126:127], s[18:19], -v[232:233]
	v_add_f64 v[6:7], v[6:7], v[62:63]
	v_add_f64 v[4:5], v[4:5], v[64:65]
	v_mul_f64 v[222:223], v[202:203], s[34:35]
	v_add_f64 v[212:213], v[244:245], v[212:213]
	v_fma_f64 v[244:245], v[190:191], s[58:59], v[224:225]
	v_add_f64 v[230:231], v[242:243], v[230:231]
	v_fma_f64 v[242:243], v[162:163], s[22:23], v[228:229]
	v_mul_f64 v[226:227], v[198:199], s[40:41]
	v_add_f64 v[214:215], v[216:217], v[214:215]
	v_fma_f64 v[218:219], v[156:157], s[44:45], v[218:219]
	v_fma_f64 v[236:237], v[136:137], s[6:7], -v[236:237]
	v_add_f64 v[220:221], v[232:233], v[220:221]
	v_add_f64 v[6:7], v[18:19], v[6:7]
	;; [unrolled: 1-line block ×4, first 2 shown]
	v_fma_f64 v[244:245], v[196:197], s[46:47], v[222:223]
	v_add_f64 v[230:231], v[242:243], v[230:231]
	v_fma_f64 v[242:243], v[172:173], s[34:35], v[226:227]
	v_mul_f64 v[234:235], v[158:159], s[2:3]
	v_add_f64 v[218:219], v[218:219], v[214:215]
	v_fma_f64 v[73:74], v[168:169], s[56:57], v[73:74]
	v_add_f64 v[220:221], v[236:237], v[220:221]
	v_fma_f64 v[236:237], v[148:149], s[2:3], -v[238:239]
	v_mul_f64 v[158:159], v[158:159], s[6:7]
	v_add_f64 v[6:7], v[26:27], v[6:7]
	v_add_f64 v[4:5], v[24:25], v[4:5]
	;; [unrolled: 1-line block ×4, first 2 shown]
	v_mul_f64 v[230:231], v[164:165], s[6:7]
	v_add_f64 v[73:74], v[73:74], v[218:219]
	v_fma_f64 v[240:241], v[180:181], s[10:11], v[240:241]
	v_add_f64 v[220:221], v[236:237], v[220:221]
	v_mul_f64 v[164:165], v[164:165], s[22:23]
	v_fma_f64 v[236:237], v[134:135], s[56:57], v[158:159]
	v_add_f64 v[6:7], v[10:11], v[6:7]
	v_add_f64 v[4:5], v[8:9], v[4:5]
	v_mul_f64 v[216:217], v[108:109], s[2:3]
	v_mul_f64 v[242:243], v[176:177], s[4:5]
	v_add_f64 v[73:74], v[240:241], v[73:74]
	v_fma_f64 v[224:225], v[190:191], s[30:31], v[224:225]
	v_fma_f64 v[60:61], v[140:141], s[58:59], v[164:165]
	v_add_f64 v[236:237], v[2:3], v[236:237]
	v_mul_f64 v[176:177], v[176:177], s[26:27]
	v_mul_f64 v[130:131], v[130:131], s[24:25]
	v_fma_f64 v[134:135], v[134:135], s[24:25], v[158:159]
	v_add_f64 v[6:7], v[14:15], v[6:7]
	v_add_f64 v[4:5], v[12:13], v[4:5]
	v_mul_f64 v[246:247], v[114:115], s[6:7]
	v_add_f64 v[112:113], v[112:113], v[234:235]
	v_add_f64 v[12:13], v[216:217], -v[110:111]
	v_add_f64 v[73:74], v[224:225], v[73:74]
	v_add_f64 v[60:61], v[60:61], v[236:237]
	v_fma_f64 v[236:237], v[150:151], s[54:55], v[176:177]
	v_fma_f64 v[222:223], v[196:197], s[40:41], v[222:223]
	v_mul_f64 v[138:139], v[138:139], s[30:31]
	v_fma_f64 v[244:245], v[108:109], s[6:7], v[130:131]
	v_fma_f64 v[14:15], v[108:109], s[6:7], -v[130:131]
	v_fma_f64 v[140:141], v[140:141], s[30:31], v[164:165]
	v_add_f64 v[134:135], v[2:3], v[134:135]
	v_add_f64 v[6:7], v[38:39], v[6:7]
	;; [unrolled: 1-line block ×3, first 2 shown]
	v_mul_f64 v[232:233], v[120:121], s[4:5]
	v_add_f64 v[110:111], v[118:119], v[230:231]
	v_add_f64 v[2:3], v[2:3], v[112:113]
	v_add_f64 v[112:113], v[246:247], -v[116:117]
	v_add_f64 v[12:13], v[0:1], v[12:13]
	v_add_f64 v[236:237], v[236:237], v[60:61]
	;; [unrolled: 1-line block ×4, first 2 shown]
	v_mul_f64 v[146:147], v[146:147], s[36:37]
	v_fma_f64 v[108:109], v[114:115], s[22:23], -v[138:139]
	v_add_f64 v[0:1], v[0:1], v[14:15]
	v_add_f64 v[134:135], v[140:141], v[134:135]
	v_fma_f64 v[140:141], v[114:115], s[22:23], v[138:139]
	v_add_f64 v[6:7], v[42:43], v[6:7]
	v_add_f64 v[4:5], v[40:41], v[4:5]
	v_mul_f64 v[218:219], v[126:127], s[22:23]
	v_mul_f64 v[238:239], v[184:185], s[22:23]
	v_add_f64 v[36:37], v[124:125], v[242:243]
	v_add_f64 v[2:3], v[110:111], v[2:3]
	v_add_f64 v[38:39], v[232:233], -v[122:123]
	v_add_f64 v[12:13], v[112:113], v[12:13]
	v_mul_f64 v[184:185], v[184:185], s[38:39]
	v_fma_f64 v[150:151], v[150:151], s[36:37], v[176:177]
	v_mul_f64 v[160:161], v[160:161], s[42:43]
	v_fma_f64 v[14:15], v[120:121], s[26:27], -v[146:147]
	v_add_f64 v[0:1], v[108:109], v[0:1]
	v_add_f64 v[140:141], v[140:141], v[222:223]
	v_fma_f64 v[222:223], v[120:121], s[26:27], v[146:147]
	v_add_f64 v[6:7], v[22:23], v[6:7]
	v_add_f64 v[4:5], v[20:21], v[4:5]
	v_mul_f64 v[68:69], v[136:137], s[18:19]
	v_mul_f64 v[70:71], v[188:189], s[18:19]
	v_add_f64 v[42:43], v[132:133], v[238:239]
	v_add_f64 v[2:3], v[36:37], v[2:3]
	v_add_f64 v[36:37], v[218:219], -v[128:129]
	v_add_f64 v[12:13], v[38:39], v[12:13]
	v_fma_f64 v[176:177], v[156:157], s[48:49], v[184:185]
	v_mul_f64 v[188:189], v[188:189], s[34:35]
	v_fma_f64 v[156:157], v[156:157], s[42:43], v[184:185]
	v_add_f64 v[134:135], v[150:151], v[134:135]
	v_mul_f64 v[64:65], v[174:175], s[46:47]
	v_fma_f64 v[40:41], v[126:127], s[38:39], -v[160:161]
	v_add_f64 v[0:1], v[14:15], v[0:1]
	v_fma_f64 v[174:175], v[126:127], s[38:39], v[160:161]
	v_add_f64 v[140:141], v[222:223], v[140:141]
	v_add_f64 v[6:7], v[34:35], v[6:7]
	;; [unrolled: 1-line block ×3, first 2 shown]
	v_mul_f64 v[240:241], v[148:149], s[26:27]
	v_fma_f64 v[228:229], v[162:163], s[22:23], -v[228:229]
	v_mul_f64 v[66:67], v[194:195], s[26:27]
	v_add_f64 v[20:21], v[144:145], v[70:71]
	v_add_f64 v[2:3], v[42:43], v[2:3]
	v_add_f64 v[22:23], v[68:69], -v[142:143]
	v_add_f64 v[12:13], v[36:37], v[12:13]
	v_mul_f64 v[194:195], v[194:195], s[18:19]
	v_fma_f64 v[184:185], v[168:169], s[40:41], v[188:189]
	v_fma_f64 v[168:169], v[168:169], s[46:47], v[188:189]
	v_add_f64 v[134:135], v[156:157], v[134:135]
	v_mul_f64 v[16:17], v[186:187], s[44:45]
	v_fma_f64 v[14:15], v[136:137], s[34:35], -v[64:65]
	v_add_f64 v[0:1], v[40:41], v[0:1]
	v_add_f64 v[176:177], v[176:177], v[236:237]
	v_fma_f64 v[18:19], v[136:137], s[34:35], v[64:65]
	v_add_f64 v[140:141], v[174:175], v[140:141]
	v_add_f64 v[6:7], v[46:47], v[6:7]
	v_add_f64 v[4:5], v[44:45], v[4:5]
	v_mul_f64 v[224:225], v[162:163], s[34:35]
	v_add_f64 v[220:221], v[228:229], v[220:221]
	v_mul_f64 v[228:229], v[200:201], s[34:35]
	v_mul_f64 v[24:25], v[192:193], s[52:53]
	v_add_f64 v[32:33], v[154:155], v[66:67]
	v_add_f64 v[2:3], v[20:21], v[2:3]
	v_add_f64 v[20:21], v[240:241], -v[152:153]
	v_add_f64 v[12:13], v[22:23], v[12:13]
	v_mul_f64 v[200:201], v[200:201], s[4:5]
	v_fma_f64 v[156:157], v[180:181], s[44:45], v[194:195]
	v_add_f64 v[134:135], v[168:169], v[134:135]
	v_fma_f64 v[26:27], v[148:149], s[18:19], v[16:17]
	v_fma_f64 v[16:17], v[148:149], s[18:19], -v[16:17]
	v_add_f64 v[0:1], v[14:15], v[0:1]
	v_fma_f64 v[62:63], v[180:181], s[28:29], v[194:195]
	v_add_f64 v[176:177], v[184:185], v[176:177]
	v_add_f64 v[18:19], v[18:19], v[140:141]
	;; [unrolled: 1-line block ×4, first 2 shown]
	v_mul_f64 v[158:159], v[172:173], s[38:39]
	v_mul_f64 v[164:165], v[202:203], s[2:3]
	;; [unrolled: 1-line block ×3, first 2 shown]
	v_fma_f64 v[10:11], v[162:163], s[4:5], v[24:25]
	v_fma_f64 v[14:15], v[162:163], s[4:5], -v[24:25]
	v_add_f64 v[22:23], v[170:171], v[228:229]
	v_add_f64 v[2:3], v[32:33], v[2:3]
	v_add_f64 v[24:25], v[224:225], -v[166:167]
	v_add_f64 v[12:13], v[20:21], v[12:13]
	v_fma_f64 v[140:141], v[190:191], s[52:53], v[200:201]
	v_add_f64 v[134:135], v[156:157], v[134:135]
	v_mul_f64 v[8:9], v[198:199], s[50:51]
	v_add_f64 v[0:1], v[16:17], v[0:1]
	v_fma_f64 v[150:151], v[190:191], s[20:21], v[200:201]
	v_add_f64 v[62:63], v[62:63], v[176:177]
	v_add_f64 v[18:19], v[26:27], v[18:19]
	;; [unrolled: 1-line block ×6, first 2 shown]
	v_add_f64 v[32:33], v[158:159], -v[178:179]
	v_add_f64 v[12:13], v[24:25], v[12:13]
	v_fma_f64 v[26:27], v[196:197], s[50:51], v[164:165]
	v_add_f64 v[134:135], v[140:141], v[134:135]
	v_fma_f64 v[16:17], v[172:173], s[2:3], -v[8:9]
	v_add_f64 v[0:1], v[14:15], v[0:1]
	v_fma_f64 v[73:74], v[172:173], s[34:35], -v[226:227]
	v_fma_f64 v[226:227], v[196:197], s[10:11], v[164:165]
	v_add_f64 v[62:63], v[150:151], v[62:63]
	v_fma_f64 v[24:25], v[172:173], s[2:3], v[8:9]
	v_add_f64 v[18:19], v[10:11], v[18:19]
	v_add_f64 v[10:11], v[58:59], v[34:35]
	;; [unrolled: 1-line block ×8, first 2 shown]
	v_mul_lo_u16_e32 v16, 17, v248
	v_lshlrev_b32_e32 v16, 4, v16
	v_add_f64 v[14:15], v[226:227], v[62:63]
	v_add_f64 v[12:13], v[24:25], v[18:19]
	ds_write_b128 v16, v[8:11]
	ds_write_b128 v16, v[4:7] offset:16
	ds_write_b128 v16, v[0:3] offset:32
	;; [unrolled: 1-line block ×16, first 2 shown]
.LBB0_7:
	s_or_b64 exec, exec, s[16:17]
	s_load_dwordx4 s[4:7], s[0:1], 0x0
	s_movk_i32 s0, 0x165
	v_add_co_u32_e64 v0, s[0:1], s0, v248
	s_movk_i32 s0, 0x1dc
	v_add_co_u32_e64 v1, s[0:1], s0, v248
	;; [unrolled: 2-line block ×5, first 2 shown]
	s_movk_i32 s0, 0xf1
	v_mul_lo_u16_sdwa v5, v248, s0 dst_sel:DWORD dst_unused:UNUSED_PAD src0_sel:BYTE_0 src1_sel:DWORD
	v_lshrrev_b16_e32 v27, 12, v5
	v_mul_lo_u16_e32 v6, 17, v27
	v_sub_u16_e32 v6, v248, v6
	v_add_u16_e32 v16, 0x77, v248
	v_and_b32_e32 v102, 0xff, v6
	v_mul_lo_u16_sdwa v6, v16, s0 dst_sel:DWORD dst_unused:UNUSED_PAD src0_sel:BYTE_0 src1_sel:DWORD
	v_lshrrev_b16_e32 v103, 12, v6
	v_mul_lo_u16_e32 v8, 17, v103
	v_sub_u16_e32 v8, v16, v8
	v_lshlrev_b32_e32 v7, 4, v102
	v_and_b32_e32 v104, 0xff, v8
	s_waitcnt lgkmcnt(0)
	s_barrier
	v_lshlrev_b32_e32 v8, 4, v104
	global_load_dwordx4 v[121:124], v7, s[8:9]
	global_load_dwordx4 v[117:120], v8, s[8:9]
	v_add_u16_e32 v40, 0xee, v248
	v_mul_u32_u24_e32 v41, 0xf0f1, v40
	v_lshrrev_b32_e32 v105, 20, v41
	s_mov_b32 s0, 0xf0f1
	v_mul_lo_u16_e32 v7, 17, v105
	v_sub_u16_e32 v106, v40, v7
	v_mul_u32_u24_sdwa v7, v0, s0 dst_sel:DWORD dst_unused:UNUSED_PAD src0_sel:WORD_0 src1_sel:DWORD
	v_lshrrev_b32_e32 v107, 20, v7
	v_mul_lo_u16_e32 v9, 17, v107
	v_lshlrev_b32_e32 v8, 4, v106
	v_sub_u16_e32 v108, v0, v9
	v_lshlrev_b32_e32 v9, 4, v108
	global_load_dwordx4 v[129:132], v8, s[8:9]
	global_load_dwordx4 v[125:128], v9, s[8:9]
	v_mul_u32_u24_sdwa v8, v1, s0 dst_sel:DWORD dst_unused:UNUSED_PAD src0_sel:WORD_0 src1_sel:DWORD
	v_lshrrev_b32_e32 v109, 20, v8
	v_mul_lo_u16_e32 v9, 17, v109
	v_sub_u16_e32 v110, v1, v9
	v_mul_u32_u24_sdwa v9, v2, s0 dst_sel:DWORD dst_unused:UNUSED_PAD src0_sel:WORD_0 src1_sel:DWORD
	v_lshrrev_b32_e32 v111, 20, v9
	v_mul_lo_u16_e32 v11, 17, v111
	v_lshlrev_b32_e32 v10, 4, v110
	v_sub_u16_e32 v112, v2, v11
	v_lshlrev_b32_e32 v11, 4, v112
	global_load_dwordx4 v[137:140], v10, s[8:9]
	global_load_dwordx4 v[133:136], v11, s[8:9]
	v_mul_u32_u24_sdwa v10, v3, s0 dst_sel:DWORD dst_unused:UNUSED_PAD src0_sel:WORD_0 src1_sel:DWORD
	v_lshrrev_b32_e32 v113, 20, v10
	v_mul_lo_u16_e32 v11, 17, v113
	v_sub_u16_e32 v114, v3, v11
	v_mul_u32_u24_sdwa v11, v4, s0 dst_sel:DWORD dst_unused:UNUSED_PAD src0_sel:WORD_0 src1_sel:DWORD
	v_lshrrev_b32_e32 v115, 20, v11
	v_mul_lo_u16_e32 v13, 17, v115
	v_lshlrev_b32_e32 v12, 4, v114
	v_sub_u16_e32 v116, v4, v13
	global_load_dwordx4 v[145:148], v12, s[8:9]
	v_lshlrev_b32_e32 v12, 4, v116
	global_load_dwordx4 v[141:144], v12, s[8:9]
	v_mov_b32_e32 v12, 4
	v_lshlrev_b32_sdwa v73, v12, v248 dst_sel:DWORD dst_unused:UNUSED_PAD src0_sel:DWORD src1_sel:WORD_0
	ds_read_b128 v[12:15], v73
	ds_read_b128 v[17:20], v73 offset:1904
	ds_read_b128 v[21:24], v73 offset:15232
	;; [unrolled: 1-line block ×15, first 2 shown]
	s_movk_i32 s10, 0x44
	v_cmp_gt_u16_e64 s[0:1], 34, v248
	s_waitcnt vmcnt(7) lgkmcnt(13)
	v_mul_f64 v[25:26], v[23:24], v[123:124]
	v_mul_f64 v[70:71], v[21:22], v[123:124]
	s_waitcnt vmcnt(6) lgkmcnt(12)
	v_mul_f64 v[90:91], v[34:35], v[119:120]
	v_mul_f64 v[92:93], v[32:33], v[119:120]
	v_fma_f64 v[21:22], v[21:22], v[121:122], -v[25:26]
	buffer_store_dword v121, off, s[60:63], 0 offset:92 ; 4-byte Folded Spill
	s_nop 0
	buffer_store_dword v122, off, s[60:63], 0 offset:96 ; 4-byte Folded Spill
	buffer_store_dword v123, off, s[60:63], 0 offset:100 ; 4-byte Folded Spill
	;; [unrolled: 1-line block ×3, first 2 shown]
	v_fma_f64 v[25:26], v[32:33], v[117:118], -v[90:91]
	buffer_store_dword v117, off, s[60:63], 0 offset:76 ; 4-byte Folded Spill
	s_nop 0
	buffer_store_dword v118, off, s[60:63], 0 offset:80 ; 4-byte Folded Spill
	buffer_store_dword v119, off, s[60:63], 0 offset:84 ; 4-byte Folded Spill
	;; [unrolled: 1-line block ×3, first 2 shown]
	s_waitcnt vmcnt(13) lgkmcnt(9)
	v_mul_f64 v[94:95], v[48:49], v[131:132]
	s_waitcnt vmcnt(12) lgkmcnt(8)
	v_mul_f64 v[98:99], v[52:53], v[127:128]
	v_mul_f64 v[96:97], v[46:47], v[131:132]
	v_mul_f64 v[100:101], v[50:51], v[127:128]
	v_add_f64 v[21:22], v[12:13], -v[21:22]
	v_fma_f64 v[46:47], v[46:47], v[129:130], -v[94:95]
	buffer_store_dword v129, off, s[60:63], 0 offset:124 ; 4-byte Folded Spill
	s_nop 0
	buffer_store_dword v130, off, s[60:63], 0 offset:128 ; 4-byte Folded Spill
	buffer_store_dword v131, off, s[60:63], 0 offset:132 ; 4-byte Folded Spill
	;; [unrolled: 1-line block ×3, first 2 shown]
	v_fma_f64 v[50:51], v[50:51], v[125:126], -v[98:99]
	s_waitcnt vmcnt(15) lgkmcnt(5)
	v_mul_f64 v[32:33], v[64:65], v[139:140]
	buffer_store_dword v125, off, s[60:63], 0 offset:108 ; 4-byte Folded Spill
	s_nop 0
	buffer_store_dword v126, off, s[60:63], 0 offset:112 ; 4-byte Folded Spill
	buffer_store_dword v127, off, s[60:63], 0 offset:116 ; 4-byte Folded Spill
	;; [unrolled: 1-line block ×3, first 2 shown]
	s_waitcnt vmcnt(18) lgkmcnt(4)
	v_mul_f64 v[90:91], v[68:69], v[135:136]
	v_fma_f64 v[12:13], v[12:13], 2.0, -v[21:22]
	v_add_f64 v[46:47], v[36:37], -v[46:47]
	v_add_f64 v[50:51], v[42:43], -v[50:51]
	s_waitcnt vmcnt(17) lgkmcnt(1)
	v_mul_f64 v[94:95], v[84:85], v[147:148]
	s_waitcnt vmcnt(16) lgkmcnt(0)
	v_mul_f64 v[98:99], v[88:89], v[143:144]
	v_fma_f64 v[36:37], v[36:37], 2.0, -v[46:47]
	v_fma_f64 v[42:43], v[42:43], 2.0, -v[50:51]
	v_fma_f64 v[23:24], v[23:24], v[121:122], v[70:71]
	v_mul_f64 v[70:71], v[62:63], v[139:140]
	v_fma_f64 v[62:63], v[62:63], v[137:138], -v[32:33]
	buffer_store_dword v137, off, s[60:63], 0 offset:156 ; 4-byte Folded Spill
	s_nop 0
	buffer_store_dword v138, off, s[60:63], 0 offset:160 ; 4-byte Folded Spill
	buffer_store_dword v139, off, s[60:63], 0 offset:164 ; 4-byte Folded Spill
	;; [unrolled: 1-line block ×3, first 2 shown]
	v_fma_f64 v[34:35], v[34:35], v[117:118], v[92:93]
	v_mul_f64 v[92:93], v[66:67], v[135:136]
	v_fma_f64 v[66:67], v[66:67], v[133:134], -v[90:91]
	buffer_store_dword v133, off, s[60:63], 0 offset:140 ; 4-byte Folded Spill
	s_nop 0
	buffer_store_dword v134, off, s[60:63], 0 offset:144 ; 4-byte Folded Spill
	buffer_store_dword v135, off, s[60:63], 0 offset:148 ; 4-byte Folded Spill
	;; [unrolled: 1-line block ×3, first 2 shown]
	v_add_f64 v[23:24], v[14:15], -v[23:24]
	v_add_f64 v[32:33], v[17:18], -v[25:26]
	;; [unrolled: 1-line block ×3, first 2 shown]
	v_mul_lo_u16_e32 v25, 34, v27
	v_add_f64 v[34:35], v[19:20], -v[34:35]
	v_fma_f64 v[48:49], v[48:49], v[129:130], v[96:97]
	v_mul_f64 v[96:97], v[82:83], v[147:148]
	v_add_f64 v[66:67], v[58:59], -v[66:67]
	v_fma_f64 v[52:53], v[52:53], v[125:126], v[100:101]
	v_mul_f64 v[100:101], v[86:87], v[143:144]
	v_fma_f64 v[86:87], v[86:87], v[141:142], -v[98:99]
	v_fma_f64 v[14:15], v[14:15], 2.0, -v[23:24]
	v_fma_f64 v[17:18], v[17:18], 2.0, -v[32:33]
	v_add_f64 v[48:49], v[38:39], -v[48:49]
	v_fma_f64 v[19:20], v[19:20], 2.0, -v[34:35]
	v_and_b32_e32 v25, 0xfe, v25
	v_add_f64 v[52:53], v[44:45], -v[52:53]
	v_add_lshl_u32 v25, v25, v102, 4
	v_add_f64 v[86:87], v[78:79], -v[86:87]
	v_fma_f64 v[54:55], v[54:55], 2.0, -v[62:63]
	v_fma_f64 v[58:59], v[58:59], 2.0, -v[66:67]
	;; [unrolled: 1-line block ×3, first 2 shown]
	v_lshrrev_b16_e32 v27, 13, v5
	v_mul_lo_u16_e32 v5, 34, v27
	v_fma_f64 v[44:45], v[44:45], 2.0, -v[52:53]
	v_sub_u16_e32 v5, v248, v5
	v_fma_f64 v[78:79], v[78:79], 2.0, -v[86:87]
	v_fma_f64 v[64:65], v[64:65], v[137:138], v[70:71]
	v_fma_f64 v[70:71], v[82:83], v[145:146], -v[94:95]
	buffer_store_dword v145, off, s[60:63], 0 offset:200 ; 4-byte Folded Spill
	s_nop 0
	buffer_store_dword v146, off, s[60:63], 0 offset:204 ; 4-byte Folded Spill
	buffer_store_dword v147, off, s[60:63], 0 offset:208 ; 4-byte Folded Spill
	;; [unrolled: 1-line block ×4, first 2 shown]
	s_nop 0
	buffer_store_dword v142, off, s[60:63], 0 offset:176 ; 4-byte Folded Spill
	buffer_store_dword v143, off, s[60:63], 0 offset:180 ; 4-byte Folded Spill
	;; [unrolled: 1-line block ×3, first 2 shown]
	v_fma_f64 v[68:69], v[68:69], v[133:134], v[92:93]
	s_waitcnt vmcnt(0)
	s_barrier
	v_add_f64 v[64:65], v[56:57], -v[64:65]
	v_add_f64 v[82:83], v[74:75], -v[70:71]
	ds_write_b128 v25, v[12:15]
	v_mul_u32_u24_e32 v12, 34, v103
	v_add_f64 v[68:69], v[60:61], -v[68:69]
	v_add_lshl_u32 v12, v12, v104, 4
	ds_write_b128 v25, v[21:24] offset:272
	ds_write_b128 v12, v[17:20]
	v_fma_f64 v[56:57], v[56:57], 2.0, -v[64:65]
	buffer_store_dword v12, off, s[60:63], 0 offset:192 ; 4-byte Folded Spill
	ds_write_b128 v12, v[32:35] offset:272
	v_mad_legacy_u16 v12, v105, 34, v106
	v_fma_f64 v[60:61], v[60:61], 2.0, -v[68:69]
	v_lshlrev_b32_e32 v12, 4, v12
	v_fma_f64 v[74:75], v[74:75], 2.0, -v[82:83]
	ds_write_b128 v12, v[36:39]
	buffer_store_dword v12, off, s[60:63], 0 offset:196 ; 4-byte Folded Spill
	ds_write_b128 v12, v[46:49] offset:272
	v_mad_legacy_u16 v12, v107, 34, v108
	v_lshlrev_b32_e32 v12, 4, v12
	ds_write_b128 v12, v[42:45]
	buffer_store_dword v12, off, s[60:63], 0 offset:216 ; 4-byte Folded Spill
	ds_write_b128 v12, v[50:53] offset:272
	v_mad_legacy_u16 v12, v109, 34, v110
	v_lshlrev_b32_e32 v12, 4, v12
	;; [unrolled: 5-line block ×3, first 2 shown]
	ds_write_b128 v12, v[58:61]
	buffer_store_dword v12, off, s[60:63], 0 offset:224 ; 4-byte Folded Spill
	ds_write_b128 v12, v[66:69] offset:272
	v_mad_legacy_u16 v12, v113, 34, v114
	v_lshrrev_b16_e32 v93, 13, v6
	v_lshlrev_b32_e32 v12, 4, v12
	v_mul_lo_u16_e32 v6, 34, v93
	buffer_store_dword v12, off, s[60:63], 0 offset:228 ; 4-byte Folded Spill
	v_and_b32_e32 v92, 0xff, v5
	v_sub_u16_e32 v6, v16, v6
	v_lshlrev_b32_e32 v5, 4, v92
	v_and_b32_e32 v94, 0xff, v6
	v_lshrrev_b32_e32 v95, 21, v41
	buffer_store_dword v25, off, s[60:63], 0 offset:188 ; 4-byte Folded Spill
	v_lshlrev_b32_e32 v6, 4, v94
	v_lshrrev_b32_e32 v103, 21, v7
	v_lshrrev_b32_e32 v105, 21, v8
	;; [unrolled: 1-line block ×5, first 2 shown]
	v_fma_f64 v[84:85], v[84:85], v[145:146], v[96:97]
	v_fma_f64 v[88:89], v[88:89], v[141:142], v[100:101]
                                        ; implicit-def: $vgpr144_vgpr145
	v_add_f64 v[84:85], v[76:77], -v[84:85]
	v_add_f64 v[88:89], v[80:81], -v[88:89]
	v_fma_f64 v[76:77], v[76:77], 2.0, -v[84:85]
	v_fma_f64 v[80:81], v[80:81], 2.0, -v[88:89]
	ds_write_b128 v12, v[82:85] offset:272
	ds_write_b128 v12, v[74:77]
	v_mad_legacy_u16 v12, v115, 34, v116
	v_lshlrev_b32_e32 v12, 4, v12
	ds_write_b128 v12, v[78:81]
	buffer_store_dword v12, off, s[60:63], 0 offset:232 ; 4-byte Folded Spill
	ds_write_b128 v12, v[86:89] offset:272
	s_waitcnt vmcnt(0) lgkmcnt(0)
	s_barrier
	global_load_dwordx4 v[117:120], v5, s[8:9] offset:272
	global_load_dwordx4 v[96:99], v6, s[8:9] offset:272
	v_mul_lo_u16_e32 v5, 34, v95
	v_sub_u16_e32 v102, v40, v5
	v_mul_lo_u16_e32 v6, 34, v103
	v_lshlrev_b32_e32 v5, 4, v102
	v_sub_u16_e32 v104, v0, v6
	v_lshlrev_b32_e32 v0, 4, v104
	global_load_dwordx4 v[121:124], v5, s[8:9] offset:272
	global_load_dwordx4 v[113:116], v0, s[8:9] offset:272
	v_mul_lo_u16_e32 v0, 34, v105
	v_sub_u16_e32 v106, v1, v0
	v_mul_lo_u16_e32 v1, 34, v107
	v_lshlrev_b32_e32 v0, 4, v106
	v_sub_u16_e32 v108, v2, v1
	v_lshlrev_b32_e32 v1, 4, v108
	global_load_dwordx4 v[129:132], v0, s[8:9] offset:272
	global_load_dwordx4 v[125:128], v1, s[8:9] offset:272
	v_mul_lo_u16_e32 v0, 34, v109
	v_sub_u16_e32 v110, v3, v0
	v_mul_lo_u16_e32 v1, 34, v111
	v_lshlrev_b32_e32 v0, 4, v110
	v_sub_u16_e32 v112, v4, v1
	global_load_dwordx4 v[137:140], v0, s[8:9] offset:272
	v_lshlrev_b32_e32 v0, 4, v112
	global_load_dwordx4 v[133:136], v0, s[8:9] offset:272
	ds_read_b128 v[0:3], v73
	ds_read_b128 v[4:7], v73 offset:1904
	ds_read_b128 v[8:11], v73 offset:15232
	;; [unrolled: 1-line block ×15, first 2 shown]
	s_waitcnt vmcnt(7) lgkmcnt(13)
	v_mul_f64 v[25:26], v[10:11], v[119:120]
	s_waitcnt vmcnt(6) lgkmcnt(12)
	v_mul_f64 v[74:75], v[14:15], v[98:99]
	v_mul_f64 v[70:71], v[8:9], v[119:120]
	v_mul_f64 v[76:77], v[12:13], v[98:99]
	s_waitcnt vmcnt(5) lgkmcnt(9)
	v_mul_f64 v[78:79], v[34:35], v[123:124]
	s_waitcnt vmcnt(4) lgkmcnt(8)
	v_mul_f64 v[82:83], v[38:39], v[115:116]
	v_mul_f64 v[80:81], v[32:33], v[123:124]
	v_fma_f64 v[8:9], v[8:9], v[117:118], -v[25:26]
	buffer_store_dword v117, off, s[60:63], 0 offset:268 ; 4-byte Folded Spill
	s_nop 0
	buffer_store_dword v118, off, s[60:63], 0 offset:272 ; 4-byte Folded Spill
	buffer_store_dword v119, off, s[60:63], 0 offset:276 ; 4-byte Folded Spill
	;; [unrolled: 1-line block ×3, first 2 shown]
	v_fma_f64 v[12:13], v[12:13], v[96:97], -v[74:75]
	buffer_store_dword v96, off, s[60:63], 0 offset:236 ; 4-byte Folded Spill
	s_nop 0
	buffer_store_dword v97, off, s[60:63], 0 offset:240 ; 4-byte Folded Spill
	buffer_store_dword v98, off, s[60:63], 0 offset:244 ; 4-byte Folded Spill
	;; [unrolled: 1-line block ×3, first 2 shown]
	v_mul_f64 v[88:89], v[36:37], v[115:116]
	v_fma_f64 v[25:26], v[32:33], v[121:122], -v[78:79]
	buffer_store_dword v121, off, s[60:63], 0 offset:284 ; 4-byte Folded Spill
	s_nop 0
	buffer_store_dword v122, off, s[60:63], 0 offset:288 ; 4-byte Folded Spill
	buffer_store_dword v123, off, s[60:63], 0 offset:292 ; 4-byte Folded Spill
	;; [unrolled: 1-line block ×3, first 2 shown]
	v_fma_f64 v[74:75], v[36:37], v[113:114], -v[82:83]
	buffer_store_dword v113, off, s[60:63], 0 offset:252 ; 4-byte Folded Spill
	s_nop 0
	buffer_store_dword v114, off, s[60:63], 0 offset:256 ; 4-byte Folded Spill
	buffer_store_dword v115, off, s[60:63], 0 offset:260 ; 4-byte Folded Spill
	;; [unrolled: 1-line block ×3, first 2 shown]
	s_waitcnt vmcnt(19) lgkmcnt(5)
	v_mul_f64 v[32:33], v[52:53], v[131:132]
	s_waitcnt vmcnt(18) lgkmcnt(4)
	v_mul_f64 v[36:37], v[56:57], v[127:128]
	;; [unrolled: 2-line block ×3, first 2 shown]
	v_add_f64 v[8:9], v[0:1], -v[8:9]
	s_waitcnt vmcnt(16) lgkmcnt(0)
	v_mul_f64 v[82:83], v[86:87], v[135:136]
	v_fma_f64 v[90:91], v[50:51], v[129:130], -v[32:33]
	v_fma_f64 v[98:99], v[54:55], v[125:126], -v[36:37]
	v_fma_f64 v[78:79], v[66:67], v[137:138], -v[78:79]
	v_add_f64 v[32:33], v[4:5], -v[12:13]
	v_fma_f64 v[82:83], v[84:85], v[133:134], -v[82:83]
	v_add_f64 v[36:37], v[17:18], -v[25:26]
	v_fma_f64 v[0:1], v[0:1], 2.0, -v[8:9]
	v_mul_lo_u16_e32 v25, 0x44, v27
	v_and_b32_e32 v25, 0xfc, v25
	v_add_lshl_u32 v25, v25, v92, 4
	v_fma_f64 v[4:5], v[4:5], 2.0, -v[32:33]
	v_add_f64 v[12:13], v[62:63], -v[82:83]
	v_fma_f64 v[17:18], v[17:18], 2.0, -v[36:37]
	v_fma_f64 v[10:11], v[10:11], v[117:118], v[70:71]
	v_fma_f64 v[14:15], v[14:15], v[96:97], v[76:77]
	;; [unrolled: 1-line block ×3, first 2 shown]
	v_mul_f64 v[34:35], v[50:51], v[131:132]
	buffer_store_dword v129, off, s[60:63], 0 offset:316 ; 4-byte Folded Spill
	s_nop 0
	buffer_store_dword v130, off, s[60:63], 0 offset:320 ; 4-byte Folded Spill
	buffer_store_dword v131, off, s[60:63], 0 offset:324 ; 4-byte Folded Spill
	;; [unrolled: 1-line block ×3, first 2 shown]
	v_fma_f64 v[76:77], v[38:39], v[113:114], v[88:89]
	v_mul_f64 v[38:39], v[54:55], v[127:128]
	buffer_store_dword v125, off, s[60:63], 0 offset:300 ; 4-byte Folded Spill
	s_nop 0
	buffer_store_dword v126, off, s[60:63], 0 offset:304 ; 4-byte Folded Spill
	buffer_store_dword v127, off, s[60:63], 0 offset:308 ; 4-byte Folded Spill
	buffer_store_dword v128, off, s[60:63], 0 offset:312 ; 4-byte Folded Spill
	v_mul_f64 v[80:81], v[66:67], v[139:140]
	buffer_store_dword v137, off, s[60:63], 0 offset:392 ; 4-byte Folded Spill
	s_nop 0
	buffer_store_dword v138, off, s[60:63], 0 offset:396 ; 4-byte Folded Spill
	buffer_store_dword v139, off, s[60:63], 0 offset:400 ; 4-byte Folded Spill
	buffer_store_dword v140, off, s[60:63], 0 offset:404 ; 4-byte Folded Spill
	;; [unrolled: 6-line block ×3, first 2 shown]
	v_add_f64 v[10:11], v[2:3], -v[10:11]
	v_add_f64 v[50:51], v[21:22], -v[74:75]
	;; [unrolled: 1-line block ×5, first 2 shown]
	s_waitcnt vmcnt(0)
	s_barrier
	v_fma_f64 v[2:3], v[2:3], 2.0, -v[10:11]
	v_fma_f64 v[21:22], v[21:22], 2.0, -v[50:51]
	;; [unrolled: 1-line block ×4, first 2 shown]
	ds_write_b128 v25, v[8:11] offset:544
	v_fma_f64 v[58:59], v[58:59], 2.0, -v[84:85]
	buffer_store_dword v25, off, s[60:63], 0 offset:380 ; 4-byte Folded Spill
                                        ; implicit-def: $vgpr8_vgpr9
	ds_write_b128 v25, v[0:3]
	v_mul_u32_u24_e32 v0, 0x44, v93
	v_add_lshl_u32 v0, v0, v94, 4
	buffer_store_dword v0, off, s[60:63], 0 offset:384 ; 4-byte Folded Spill
	v_fma_f64 v[96:97], v[52:53], v[129:130], v[34:35]
	v_add_f64 v[34:35], v[6:7], -v[14:15]
	v_add_f64 v[52:53], v[23:24], -v[76:77]
	v_fma_f64 v[100:101], v[56:57], v[125:126], v[38:39]
	v_add_f64 v[38:39], v[19:20], -v[70:71]
	v_fma_f64 v[80:81], v[68:69], v[137:138], v[80:81]
	v_fma_f64 v[136:137], v[62:63], 2.0, -v[12:13]
	v_fma_f64 v[88:89], v[86:87], v[133:134], v[88:89]
	v_add_f64 v[56:57], v[44:45], -v[96:97]
	v_fma_f64 v[6:7], v[6:7], 2.0, -v[34:35]
	v_fma_f64 v[23:24], v[23:24], 2.0, -v[52:53]
	v_add_f64 v[68:69], v[48:49], -v[100:101]
	v_fma_f64 v[19:20], v[19:20], 2.0, -v[38:39]
	v_add_f64 v[86:87], v[60:61], -v[80:81]
	ds_write_b128 v0, v[32:35] offset:544
	v_add_f64 v[14:15], v[64:65], -v[88:89]
	v_fma_f64 v[44:45], v[44:45], 2.0, -v[56:57]
	ds_write_b128 v0, v[4:7]
	v_mad_legacy_u16 v0, v95, s10, v102
	v_fma_f64 v[48:49], v[48:49], 2.0, -v[68:69]
	v_lshlrev_b32_e32 v0, 4, v0
	v_fma_f64 v[60:61], v[60:61], 2.0, -v[86:87]
	ds_write_b128 v0, v[17:20]
	buffer_store_dword v0, off, s[60:63], 0 offset:388 ; 4-byte Folded Spill
	ds_write_b128 v0, v[36:39] offset:544
	v_mad_legacy_u16 v0, v103, s10, v104
	v_lshlrev_b32_e32 v0, 4, v0
	v_fma_f64 v[138:139], v[64:65], 2.0, -v[14:15]
	ds_write_b128 v0, v[21:24]
	buffer_store_dword v0, off, s[60:63], 0 offset:408 ; 4-byte Folded Spill
	ds_write_b128 v0, v[50:53] offset:544
	v_mad_legacy_u16 v0, v105, s10, v106
	v_lshlrev_b32_e32 v0, 4, v0
	ds_write_b128 v0, v[42:45]
	buffer_store_dword v0, off, s[60:63], 0 offset:412 ; 4-byte Folded Spill
	ds_write_b128 v0, v[54:57] offset:544
	v_mad_legacy_u16 v0, v107, s10, v108
	v_lshlrev_b32_e32 v0, 4, v0
	;; [unrolled: 5-line block ×4, first 2 shown]
	ds_write_b128 v0, v[136:139]
	buffer_store_dword v0, off, s[60:63], 0 offset:424 ; 4-byte Folded Spill
	ds_write_b128 v0, v[12:15] offset:544
	s_waitcnt vmcnt(0) lgkmcnt(0)
	s_barrier
	ds_read_b128 v[0:3], v73
	ds_read_b128 v[140:143], v73 offset:1904
	ds_read_b128 v[132:135], v73 offset:4352
	;; [unrolled: 1-line block ×13, first 2 shown]
                                        ; implicit-def: $vgpr56_vgpr57
                                        ; implicit-def: $vgpr4_vgpr5
	s_and_saveexec_b64 s[2:3], s[0:1]
	s_cbranch_execz .LBB0_9
; %bb.8:
	ds_read_b128 v[136:139], v73 offset:3808
	ds_read_b128 v[12:15], v73 offset:8160
	;; [unrolled: 1-line block ×7, first 2 shown]
.LBB0_9:
	s_or_b64 exec, exec, s[2:3]
	v_add_u32_e32 v17, 0xffffffbc, v248
	v_cmp_gt_u16_e64 s[2:3], s10, v248
	v_cndmask_b32_e64 v74, v17, v248, s[2:3]
	v_mul_i32_i24_e32 v17, 0x60, v74
	v_mul_hi_i32_i24_e32 v18, 0x60, v74
	v_add_co_u32_e64 v17, s[2:3], s8, v17
	v_mov_b32_e32 v48, s9
	v_addc_co_u32_e64 v18, s[2:3], v48, v18, s[2:3]
	global_load_dwordx4 v[21:24], v[17:18], off offset:864
	global_load_dwordx4 v[32:35], v[17:18], off offset:848
	;; [unrolled: 1-line block ×4, first 2 shown]
	s_movk_i32 s2, 0x79
	s_movk_i32 s10, 0x60
	v_lshrrev_b32_e32 v41, 22, v41
	v_mul_lo_u16_e32 v41, 0x44, v41
	s_mov_b32 s18, 0xe976ee23
	s_mov_b32 s16, 0x429ad128
	;; [unrolled: 1-line block ×16, first 2 shown]
	s_waitcnt vmcnt(0) lgkmcnt(11)
	v_mul_f64 v[19:20], v[134:135], v[44:45]
	v_fma_f64 v[52:53], v[132:133], v[42:43], -v[19:20]
	v_mul_f64 v[19:20], v[132:133], v[44:45]
	buffer_store_dword v42, off, s[60:63], 0 offset:460 ; 4-byte Folded Spill
	s_nop 0
	buffer_store_dword v43, off, s[60:63], 0 offset:464 ; 4-byte Folded Spill
	buffer_store_dword v44, off, s[60:63], 0 offset:468 ; 4-byte Folded Spill
	buffer_store_dword v45, off, s[60:63], 0 offset:472 ; 4-byte Folded Spill
	v_fma_f64 v[62:63], v[134:135], v[42:43], v[19:20]
	s_waitcnt lgkmcnt(9)
	v_mul_f64 v[19:20], v[126:127], v[38:39]
	v_fma_f64 v[54:55], v[124:125], v[36:37], -v[19:20]
	v_mul_f64 v[19:20], v[124:125], v[38:39]
	buffer_store_dword v36, off, s[60:63], 0 offset:444 ; 4-byte Folded Spill
	s_nop 0
	buffer_store_dword v37, off, s[60:63], 0 offset:448 ; 4-byte Folded Spill
	buffer_store_dword v38, off, s[60:63], 0 offset:452 ; 4-byte Folded Spill
	buffer_store_dword v39, off, s[60:63], 0 offset:456 ; 4-byte Folded Spill
	v_fma_f64 v[64:65], v[126:127], v[36:37], v[19:20]
	s_waitcnt lgkmcnt(7)
	v_mul_f64 v[19:20], v[114:115], v[34:35]
	v_fma_f64 v[60:61], v[112:113], v[32:33], -v[19:20]
	v_mul_f64 v[19:20], v[112:113], v[34:35]
	buffer_store_dword v32, off, s[60:63], 0 offset:428 ; 4-byte Folded Spill
	s_nop 0
	buffer_store_dword v33, off, s[60:63], 0 offset:432 ; 4-byte Folded Spill
	buffer_store_dword v34, off, s[60:63], 0 offset:436 ; 4-byte Folded Spill
	buffer_store_dword v35, off, s[60:63], 0 offset:440 ; 4-byte Folded Spill
	v_fma_f64 v[66:67], v[114:115], v[32:33], v[19:20]
	s_waitcnt lgkmcnt(5)
	v_mul_f64 v[19:20], v[110:111], v[23:24]
	v_fma_f64 v[68:69], v[108:109], v[21:22], -v[19:20]
	v_mul_f64 v[19:20], v[108:109], v[23:24]
	buffer_store_dword v21, off, s[60:63], 0 offset:364 ; 4-byte Folded Spill
	s_nop 0
	buffer_store_dword v22, off, s[60:63], 0 offset:368 ; 4-byte Folded Spill
	buffer_store_dword v23, off, s[60:63], 0 offset:372 ; 4-byte Folded Spill
	;; [unrolled: 1-line block ×3, first 2 shown]
	v_fma_f64 v[70:71], v[110:111], v[21:22], v[19:20]
	global_load_dwordx4 v[19:22], v[17:18], off offset:896
	global_load_dwordx4 v[23:26], v[17:18], off offset:880
	s_waitcnt vmcnt(0) lgkmcnt(3)
	v_mul_f64 v[17:18], v[122:123], v[25:26]
	v_fma_f64 v[75:76], v[120:121], v[23:24], -v[17:18]
	v_mul_f64 v[17:18], v[120:121], v[25:26]
	buffer_store_dword v23, off, s[60:63], 0 offset:492 ; 4-byte Folded Spill
	s_nop 0
	buffer_store_dword v24, off, s[60:63], 0 offset:496 ; 4-byte Folded Spill
	buffer_store_dword v25, off, s[60:63], 0 offset:500 ; 4-byte Folded Spill
	;; [unrolled: 1-line block ×3, first 2 shown]
	v_fma_f64 v[77:78], v[122:123], v[23:24], v[17:18]
	s_waitcnt lgkmcnt(1)
	v_mul_f64 v[17:18], v[118:119], v[21:22]
	v_fma_f64 v[79:80], v[116:117], v[19:20], -v[17:18]
	v_mul_f64 v[17:18], v[116:117], v[21:22]
	buffer_store_dword v19, off, s[60:63], 0 offset:476 ; 4-byte Folded Spill
	s_nop 0
	buffer_store_dword v20, off, s[60:63], 0 offset:480 ; 4-byte Folded Spill
	buffer_store_dword v21, off, s[60:63], 0 offset:484 ; 4-byte Folded Spill
	;; [unrolled: 1-line block ×3, first 2 shown]
	v_fma_f64 v[81:82], v[118:119], v[19:20], v[17:18]
	v_mul_lo_u16_sdwa v17, v16, s2 dst_sel:DWORD dst_unused:UNUSED_PAD src0_sel:BYTE_0 src1_sel:DWORD
	v_lshrrev_b16_e32 v164, 13, v17
	v_mul_lo_u16_e32 v17, 0x44, v164
	v_sub_u16_e32 v16, v16, v17
	v_and_b32_e32 v165, 0xff, v16
	v_mov_b32_e32 v17, s9
	v_mov_b32_e32 v16, s8
	v_mad_u64_u32 v[36:37], s[2:3], v165, s10, v[16:17]
	global_load_dwordx4 v[42:45], v[36:37], off offset:864
	global_load_dwordx4 v[120:123], v[36:37], off offset:848
	;; [unrolled: 1-line block ×4, first 2 shown]
	s_mov_b32 s10, 0x37e14327
	s_mov_b32 s11, 0x3fe948f6
	s_waitcnt vmcnt(3)
	v_mul_f64 v[32:33], v[86:87], v[44:45]
	v_mul_f64 v[34:35], v[84:85], v[44:45]
	s_waitcnt vmcnt(1)
	v_mul_f64 v[20:21], v[156:157], v[126:127]
	v_mul_f64 v[26:27], v[128:129], v[122:123]
	;; [unrolled: 3-line block ×3, first 2 shown]
	v_fma_f64 v[32:33], v[84:85], v[42:43], -v[32:33]
	buffer_store_dword v42, off, s[60:63], 0 offset:508 ; 4-byte Folded Spill
	s_nop 0
	buffer_store_dword v43, off, s[60:63], 0 offset:512 ; 4-byte Folded Spill
	buffer_store_dword v44, off, s[60:63], 0 offset:516 ; 4-byte Folded Spill
	;; [unrolled: 1-line block ×3, first 2 shown]
	v_fma_f64 v[24:25], v[158:159], v[124:125], v[20:21]
	v_mul_f64 v[20:21], v[130:131], v[122:123]
	v_fma_f64 v[26:27], v[130:131], v[120:121], v[26:27]
	v_fma_f64 v[22:23], v[162:163], v[132:133], v[18:19]
	v_mul_f64 v[18:19], v[158:159], v[126:127]
	v_fma_f64 v[16:17], v[160:161], v[132:133], -v[16:17]
	v_fma_f64 v[20:21], v[128:129], v[120:121], -v[20:21]
	;; [unrolled: 1-line block ×3, first 2 shown]
	v_fma_f64 v[34:35], v[86:87], v[42:43], v[34:35]
	global_load_dwordx4 v[83:86], v[36:37], off offset:896
	global_load_dwordx4 v[128:131], v[36:37], off offset:880
	s_waitcnt vmcnt(1) lgkmcnt(0)
	v_mul_f64 v[42:43], v[150:151], v[85:86]
	s_waitcnt vmcnt(0)
	v_mul_f64 v[36:37], v[154:155], v[130:131]
	v_mul_f64 v[38:39], v[152:153], v[130:131]
	v_fma_f64 v[44:45], v[148:149], v[83:84], -v[42:43]
	v_mul_f64 v[42:43], v[148:149], v[85:86]
	buffer_store_dword v83, off, s[60:63], 0 offset:348 ; 4-byte Folded Spill
	s_nop 0
	buffer_store_dword v84, off, s[60:63], 0 offset:352 ; 4-byte Folded Spill
	buffer_store_dword v85, off, s[60:63], 0 offset:356 ; 4-byte Folded Spill
	;; [unrolled: 1-line block ×3, first 2 shown]
	v_sub_u16_e32 v148, v40, v41
	v_mul_lo_u16_e32 v40, 0x60, v148
	v_add_co_u32_e64 v149, s[2:3], s8, v40
	v_fma_f64 v[36:37], v[152:153], v[128:129], -v[36:37]
	v_fma_f64 v[38:39], v[154:155], v[128:129], v[38:39]
	v_lshlrev_b32_e32 v118, 4, v148
	v_fma_f64 v[46:47], v[150:151], v[83:84], v[42:43]
	v_addc_co_u32_e64 v150, s[2:3], 0, v48, s[2:3]
	global_load_dwordx4 v[94:97], v[149:150], off offset:864
	global_load_dwordx4 v[98:101], v[149:150], off offset:848
	;; [unrolled: 1-line block ×6, first 2 shown]
	s_mov_b32 s2, 0x36b3c0b5
	s_mov_b32 s3, 0x3fac98ee
	s_waitcnt vmcnt(5)
	v_mul_f64 v[48:49], v[146:147], v[96:97]
	v_mul_f64 v[50:51], v[144:145], v[96:97]
	s_waitcnt vmcnt(2)
	v_mul_f64 v[40:41], v[14:15], v[108:109]
	v_fma_f64 v[48:49], v[144:145], v[94:95], -v[48:49]
	v_fma_f64 v[50:51], v[146:147], v[94:95], v[50:51]
	v_fma_f64 v[40:41], v[12:13], v[106:107], -v[40:41]
	v_mul_f64 v[12:13], v[12:13], v[108:109]
	v_fma_f64 v[42:43], v[14:15], v[106:107], v[12:13]
	v_mul_f64 v[12:13], v[30:31], v[104:105]
	v_mul_f64 v[14:15], v[28:29], v[104:105]
	v_fma_f64 v[12:13], v[28:29], v[102:103], -v[12:13]
	v_fma_f64 v[28:29], v[30:31], v[102:103], v[14:15]
	v_mul_f64 v[14:15], v[58:59], v[100:101]
	v_mul_f64 v[30:31], v[56:57], v[100:101]
	v_fma_f64 v[14:15], v[56:57], v[98:99], -v[14:15]
	s_waitcnt vmcnt(0)
	v_mul_f64 v[56:57], v[6:7], v[85:86]
	v_fma_f64 v[30:31], v[58:59], v[98:99], v[30:31]
	v_add_f64 v[58:59], v[62:63], -v[81:82]
	v_fma_f64 v[153:154], v[4:5], v[83:84], -v[56:57]
	v_mul_f64 v[4:5], v[4:5], v[85:86]
	buffer_store_dword v83, off, s[60:63], 0 offset:528 ; 4-byte Folded Spill
	s_nop 0
	buffer_store_dword v84, off, s[60:63], 0 offset:532 ; 4-byte Folded Spill
	buffer_store_dword v85, off, s[60:63], 0 offset:536 ; 4-byte Folded Spill
	;; [unrolled: 1-line block ×3, first 2 shown]
	v_add_f64 v[56:57], v[62:63], v[81:82]
	v_add_f64 v[62:63], v[54:55], v[75:76]
	v_add_f64 v[54:55], v[54:55], -v[75:76]
	v_add_f64 v[75:76], v[60:61], v[68:69]
	v_add_f64 v[60:61], v[68:69], -v[60:61]
	;; [unrolled: 2-line block ×3, first 2 shown]
	v_fma_f64 v[4:5], v[6:7], v[83:84], v[4:5]
	v_mul_f64 v[6:7], v[10:11], v[112:113]
	v_fma_f64 v[6:7], v[8:9], v[110:111], -v[6:7]
	v_mul_f64 v[8:9], v[8:9], v[112:113]
	v_fma_f64 v[8:9], v[10:11], v[110:111], v[8:9]
	v_add_f64 v[10:11], v[52:53], v[79:80]
	v_add_f64 v[52:53], v[52:53], -v[79:80]
	v_add_f64 v[79:80], v[64:65], v[77:78]
	v_add_f64 v[64:65], v[64:65], -v[77:78]
	;; [unrolled: 2-line block ×5, first 2 shown]
	v_add_f64 v[10:11], v[10:11], -v[75:76]
	v_add_f64 v[56:57], v[56:57], -v[77:78]
	;; [unrolled: 1-line block ×4, first 2 shown]
	v_add_f64 v[149:150], v[66:67], v[64:65]
	v_add_f64 v[155:156], v[66:67], -v[64:65]
	v_add_f64 v[157:158], v[54:55], -v[52:53]
	v_add_f64 v[64:65], v[64:65], -v[58:59]
	v_add_f64 v[68:69], v[75:76], v[68:69]
	v_add_f64 v[70:71], v[77:78], v[70:71]
	v_add_f64 v[60:61], v[52:53], -v[60:61]
	v_add_f64 v[66:67], v[58:59], -v[66:67]
	v_add_f64 v[75:76], v[146:147], v[52:53]
	v_add_f64 v[58:59], v[149:150], v[58:59]
	v_mul_f64 v[77:78], v[151:152], s[18:19]
	v_mul_f64 v[146:147], v[155:156], s[18:19]
	v_add_f64 v[52:53], v[0:1], v[68:69]
	v_add_f64 v[54:55], v[2:3], v[70:71]
	v_mul_f64 v[0:1], v[10:11], s[10:11]
	v_mul_f64 v[2:3], v[56:57], s[10:11]
	;; [unrolled: 1-line block ×6, first 2 shown]
	v_fma_f64 v[68:69], v[68:69], s[22:23], v[52:53]
	v_fma_f64 v[70:71], v[70:71], s[22:23], v[54:55]
	;; [unrolled: 1-line block ×4, first 2 shown]
	v_fma_f64 v[10:11], v[81:82], s[24:25], -v[10:11]
	v_fma_f64 v[56:57], v[144:145], s[24:25], -v[56:57]
	;; [unrolled: 1-line block ×4, first 2 shown]
	v_fma_f64 v[81:82], v[60:61], s[30:31], v[77:78]
	v_fma_f64 v[144:145], v[66:67], s[30:31], v[146:147]
	v_fma_f64 v[77:78], v[157:158], s[16:17], -v[77:78]
	v_fma_f64 v[64:65], v[64:65], s[16:17], -v[146:147]
	;; [unrolled: 1-line block ×4, first 2 shown]
	v_add_f64 v[149:150], v[62:63], v[68:69]
	v_add_f64 v[79:80], v[79:80], v[70:71]
	v_add_f64 v[10:11], v[10:11], v[68:69]
	v_add_f64 v[146:147], v[56:57], v[70:71]
	v_add_f64 v[0:1], v[0:1], v[68:69]
	v_add_f64 v[2:3], v[2:3], v[70:71]
	v_fma_f64 v[81:82], v[75:76], s[20:21], v[81:82]
	v_fma_f64 v[70:71], v[75:76], s[20:21], v[77:78]
	;; [unrolled: 1-line block ×6, first 2 shown]
	v_add_f64 v[58:59], v[79:80], -v[81:82]
	v_add_f64 v[66:67], v[70:71], v[146:147]
	v_add_f64 v[64:65], v[10:11], -v[68:69]
	v_add_f64 v[62:63], v[2:3], -v[75:76]
	v_add_f64 v[60:61], v[77:78], v[0:1]
	v_add_f64 v[68:69], v[68:69], v[10:11]
	v_add_f64 v[70:71], v[146:147], -v[70:71]
	v_add_f64 v[144:145], v[0:1], -v[77:78]
	v_add_f64 v[146:147], v[75:76], v[2:3]
	v_add_f64 v[0:1], v[16:17], v[44:45]
	;; [unrolled: 1-line block ×3, first 2 shown]
	v_add_f64 v[10:11], v[16:17], -v[44:45]
	v_add_f64 v[16:17], v[22:23], -v[46:47]
	v_add_f64 v[22:23], v[18:19], v[36:37]
	v_add_f64 v[44:45], v[24:25], v[38:39]
	v_add_f64 v[18:19], v[18:19], -v[36:37]
	v_add_f64 v[24:25], v[24:25], -v[38:39]
	v_add_f64 v[36:37], v[20:21], v[32:33]
	v_add_f64 v[38:39], v[26:27], v[34:35]
	;; [unrolled: 4-line block ×3, first 2 shown]
	v_add_f64 v[56:57], v[151:152], v[149:150]
	v_add_f64 v[149:150], v[149:150], -v[151:152]
	v_add_f64 v[151:152], v[81:82], v[79:80]
	v_add_f64 v[46:47], v[22:23], -v[0:1]
	v_add_f64 v[75:76], v[44:45], -v[2:3]
	;; [unrolled: 1-line block ×6, first 2 shown]
	v_add_f64 v[77:78], v[20:21], v[18:19]
	v_add_f64 v[79:80], v[26:27], v[24:25]
	v_add_f64 v[81:82], v[20:21], -v[18:19]
	v_add_f64 v[155:156], v[26:27], -v[24:25]
	;; [unrolled: 1-line block ×4, first 2 shown]
	v_add_f64 v[32:33], v[36:37], v[32:33]
	v_add_f64 v[34:35], v[38:39], v[34:35]
	v_add_f64 v[20:21], v[10:11], -v[20:21]
	v_add_f64 v[26:27], v[16:17], -v[26:27]
	v_add_f64 v[10:11], v[77:78], v[10:11]
	v_add_f64 v[36:37], v[79:80], v[16:17]
	v_mul_f64 v[0:1], v[0:1], s[10:11]
	v_mul_f64 v[2:3], v[2:3], s[10:11]
	v_add_f64 v[16:17], v[140:141], v[32:33]
	v_add_f64 v[18:19], v[142:143], v[34:35]
	v_mul_f64 v[38:39], v[22:23], s[2:3]
	v_mul_f64 v[77:78], v[44:45], s[2:3]
	;; [unrolled: 1-line block ×6, first 2 shown]
	v_fma_f64 v[32:33], v[32:33], s[22:23], v[16:17]
	v_fma_f64 v[34:35], v[34:35], s[22:23], v[18:19]
	;; [unrolled: 1-line block ×4, first 2 shown]
	v_fma_f64 v[38:39], v[46:47], s[24:25], -v[38:39]
	v_fma_f64 v[77:78], v[75:76], s[24:25], -v[77:78]
	;; [unrolled: 1-line block ×4, first 2 shown]
	v_fma_f64 v[46:47], v[20:21], s[30:31], v[79:80]
	v_fma_f64 v[75:76], v[26:27], s[30:31], v[81:82]
	v_fma_f64 v[79:80], v[157:158], s[16:17], -v[79:80]
	v_fma_f64 v[24:25], v[24:25], s[16:17], -v[81:82]
	;; [unrolled: 1-line block ×4, first 2 shown]
	v_add_f64 v[142:143], v[44:45], v[34:35]
	v_add_f64 v[38:39], v[38:39], v[32:33]
	v_add_f64 v[44:45], v[77:78], v[34:35]
	v_add_f64 v[0:1], v[0:1], v[32:33]
	v_add_f64 v[2:3], v[2:3], v[34:35]
	v_fma_f64 v[77:78], v[10:11], s[20:21], v[46:47]
	v_fma_f64 v[46:47], v[10:11], s[20:21], v[79:80]
	;; [unrolled: 1-line block ×5, first 2 shown]
	v_add_f64 v[81:82], v[22:23], v[32:33]
	v_fma_f64 v[75:76], v[36:37], s[20:21], v[75:76]
	v_add_f64 v[22:23], v[142:143], -v[77:78]
	v_add_f64 v[34:35], v[46:47], v[44:45]
	v_add_f64 v[32:33], v[38:39], -v[79:80]
	v_add_f64 v[26:27], v[2:3], -v[10:11]
	v_add_f64 v[24:25], v[140:141], v[0:1]
	v_add_f64 v[36:37], v[79:80], v[38:39]
	v_add_f64 v[38:39], v[44:45], -v[46:47]
	v_add_f64 v[44:45], v[0:1], -v[140:141]
	v_add_f64 v[46:47], v[10:11], v[2:3]
	v_add_f64 v[0:1], v[40:41], v[6:7]
	;; [unrolled: 1-line block ×3, first 2 shown]
	v_add_f64 v[6:7], v[40:41], -v[6:7]
	v_add_f64 v[10:11], v[12:13], v[153:154]
	v_add_f64 v[40:41], v[28:29], v[4:5]
	v_add_f64 v[8:9], v[42:43], -v[8:9]
	v_add_f64 v[12:13], v[12:13], -v[153:154]
	;; [unrolled: 1-line block ×3, first 2 shown]
	v_add_f64 v[28:29], v[14:15], v[48:49]
	v_add_f64 v[42:43], v[30:31], v[50:51]
	v_add_f64 v[14:15], v[48:49], -v[14:15]
	v_add_f64 v[30:31], v[50:51], -v[30:31]
	v_add_f64 v[48:49], v[10:11], v[0:1]
	v_add_f64 v[50:51], v[40:41], v[2:3]
	;; [unrolled: 1-line block ×3, first 2 shown]
	v_add_f64 v[140:141], v[81:82], -v[75:76]
	v_add_f64 v[142:143], v[77:78], v[142:143]
	v_add_f64 v[75:76], v[10:11], -v[0:1]
	v_add_f64 v[77:78], v[40:41], -v[2:3]
	;; [unrolled: 1-line block ×6, first 2 shown]
	v_add_f64 v[0:1], v[14:15], v[12:13]
	v_add_f64 v[2:3], v[30:31], v[4:5]
	v_add_f64 v[153:154], v[14:15], -v[12:13]
	v_add_f64 v[155:156], v[30:31], -v[4:5]
	v_add_f64 v[28:29], v[28:29], v[48:49]
	v_add_f64 v[42:43], v[42:43], v[50:51]
	v_add_f64 v[14:15], v[6:7], -v[14:15]
	v_add_f64 v[30:31], v[8:9], -v[30:31]
	v_add_f64 v[12:13], v[12:13], -v[6:7]
	v_add_f64 v[4:5], v[4:5], -v[8:9]
	v_add_f64 v[48:49], v[0:1], v[6:7]
	v_add_f64 v[50:51], v[2:3], v[8:9]
	;; [unrolled: 1-line block ×4, first 2 shown]
	v_mul_f64 v[6:7], v[79:80], s[10:11]
	v_mul_f64 v[8:9], v[81:82], s[10:11]
	;; [unrolled: 1-line block ×8, first 2 shown]
	v_fma_f64 v[28:29], v[28:29], s[22:23], v[0:1]
	v_fma_f64 v[42:43], v[42:43], s[22:23], v[2:3]
	;; [unrolled: 1-line block ×4, first 2 shown]
	v_fma_f64 v[79:80], v[75:76], s[24:25], -v[79:80]
	v_fma_f64 v[81:82], v[77:78], s[24:25], -v[81:82]
	;; [unrolled: 1-line block ×4, first 2 shown]
	v_fma_f64 v[77:78], v[14:15], s[30:31], v[136:137]
	v_fma_f64 v[12:13], v[12:13], s[16:17], -v[136:137]
	v_fma_f64 v[136:137], v[4:5], s[16:17], -v[138:139]
	v_fma_f64 v[157:158], v[30:31], s[30:31], v[138:139]
	v_fma_f64 v[14:15], v[14:15], s[28:29], -v[153:154]
	v_fma_f64 v[30:31], v[30:31], s[28:29], -v[155:156]
	v_add_f64 v[4:5], v[10:11], v[28:29]
	v_add_f64 v[6:7], v[40:41], v[42:43]
	;; [unrolled: 1-line block ×5, first 2 shown]
	v_fma_f64 v[12:13], v[48:49], s[20:21], v[12:13]
	v_fma_f64 v[75:76], v[50:51], s[20:21], v[136:137]
	v_add_f64 v[42:43], v[8:9], v[42:43]
	v_fma_f64 v[10:11], v[48:49], s[20:21], v[77:78]
	v_fma_f64 v[8:9], v[50:51], s[20:21], v[157:158]
	;; [unrolled: 1-line block ×4, first 2 shown]
	s_movk_i32 s2, 0x43
	v_add_f64 v[50:51], v[12:13], v[79:80]
	v_add_f64 v[48:49], v[40:41], -v[75:76]
	buffer_store_dword v48, off, s[60:63], 0 offset:12 ; 4-byte Folded Spill
	s_nop 0
	buffer_store_dword v49, off, s[60:63], 0 offset:16 ; 4-byte Folded Spill
	buffer_store_dword v50, off, s[60:63], 0 offset:20 ; 4-byte Folded Spill
	;; [unrolled: 1-line block ×3, first 2 shown]
	v_add_f64 v[202:203], v[42:43], -v[14:15]
	v_add_f64 v[48:49], v[75:76], v[40:41]
	v_add_f64 v[50:51], v[79:80], -v[12:13]
	v_add_f64 v[12:13], v[28:29], -v[30:31]
	v_add_f64 v[14:15], v[14:15], v[42:43]
	buffer_store_dword v48, off, s[60:63], 0 offset:28 ; 4-byte Folded Spill
	s_nop 0
	buffer_store_dword v49, off, s[60:63], 0 offset:32 ; 4-byte Folded Spill
	buffer_store_dword v50, off, s[60:63], 0 offset:36 ; 4-byte Folded Spill
	;; [unrolled: 1-line block ×4, first 2 shown]
	s_nop 0
	buffer_store_dword v13, off, s[60:63], 0 offset:48 ; 4-byte Folded Spill
	buffer_store_dword v14, off, s[60:63], 0 offset:52 ; 4-byte Folded Spill
	;; [unrolled: 1-line block ×3, first 2 shown]
	v_add_f64 v[12:13], v[4:5], -v[8:9]
	v_add_f64 v[14:15], v[10:11], v[6:7]
	v_add_f64 v[200:201], v[30:31], v[28:29]
	buffer_store_dword v12, off, s[60:63], 0 offset:60 ; 4-byte Folded Spill
	s_nop 0
	buffer_store_dword v13, off, s[60:63], 0 offset:64 ; 4-byte Folded Spill
	buffer_store_dword v14, off, s[60:63], 0 offset:68 ; 4-byte Folded Spill
	;; [unrolled: 1-line block ×3, first 2 shown]
	v_cmp_lt_u16_e64 s[2:3], s2, v248
	v_mov_b32_e32 v12, 0x1dc
	v_cndmask_b32_e64 v12, 0, v12, s[2:3]
	v_add_lshl_u32 v119, v74, v12, 4
	v_mul_u32_u24_e32 v12, 0x1dc, v164
	v_add_lshl_u32 v12, v12, v165, 4
	s_waitcnt vmcnt(0)
	s_barrier
	ds_write_b128 v119, v[52:55]
	ds_write_b128 v119, v[56:59] offset:1088
	ds_write_b128 v119, v[60:63] offset:2176
	;; [unrolled: 1-line block ×6, first 2 shown]
	ds_write_b128 v12, v[16:19]
	ds_write_b128 v12, v[20:23] offset:1088
	ds_write_b128 v12, v[24:27] offset:2176
	;; [unrolled: 1-line block ×5, first 2 shown]
	buffer_store_dword v12, off, s[60:63], 0 offset:524 ; 4-byte Folded Spill
	ds_write_b128 v12, v[140:143] offset:6528
	s_and_saveexec_b64 s[2:3], s[0:1]
	s_cbranch_execz .LBB0_11
; %bb.10:
	ds_write_b128 v118, v[0:3] offset:22848
	ds_write_b128 v118, v[200:203] offset:25024
	buffer_load_dword v0, off, s[60:63], 0 offset:12 ; 4-byte Folded Reload
	buffer_load_dword v1, off, s[60:63], 0 offset:16 ; 4-byte Folded Reload
	;; [unrolled: 1-line block ×4, first 2 shown]
	v_add_f64 v[6:7], v[6:7], -v[10:11]
	v_add_f64 v[4:5], v[8:9], v[4:5]
	s_waitcnt vmcnt(0)
	ds_write_b128 v118, v[0:3] offset:26112
	buffer_load_dword v0, off, s[60:63], 0 offset:28 ; 4-byte Folded Reload
	buffer_load_dword v1, off, s[60:63], 0 offset:32 ; 4-byte Folded Reload
	;; [unrolled: 1-line block ×4, first 2 shown]
	s_waitcnt vmcnt(0)
	ds_write_b128 v118, v[0:3] offset:27200
	buffer_load_dword v0, off, s[60:63], 0 offset:44 ; 4-byte Folded Reload
	buffer_load_dword v1, off, s[60:63], 0 offset:48 ; 4-byte Folded Reload
	;; [unrolled: 1-line block ×4, first 2 shown]
	s_waitcnt vmcnt(0)
	ds_write_b128 v118, v[0:3] offset:28288
	ds_write_b128 v118, v[4:7] offset:23936
	buffer_load_dword v0, off, s[60:63], 0 offset:60 ; 4-byte Folded Reload
	buffer_load_dword v1, off, s[60:63], 0 offset:64 ; 4-byte Folded Reload
	buffer_load_dword v2, off, s[60:63], 0 offset:68 ; 4-byte Folded Reload
	buffer_load_dword v3, off, s[60:63], 0 offset:72 ; 4-byte Folded Reload
	s_waitcnt vmcnt(0)
	ds_write_b128 v118, v[0:3] offset:29376
.LBB0_11:
	s_or_b64 exec, exec, s[2:3]
	v_mad_u64_u32 v[60:61], s[2:3], v248, 48, s[8:9]
	s_movk_i32 s2, 0x1cb0
	s_movk_i32 s19, 0x1000
	v_add_co_u32_e64 v62, s[2:3], s2, v60
	v_addc_co_u32_e64 v63, s[2:3], 0, v61, s[2:3]
	v_add_co_u32_e64 v64, s[2:3], s19, v60
	s_waitcnt vmcnt(0) lgkmcnt(0)
	s_barrier
	ds_read_b128 v[12:15], v73
	ds_read_b128 v[16:19], v73 offset:7616
	ds_read_b128 v[20:23], v73 offset:15232
	;; [unrolled: 1-line block ×15, first 2 shown]
	buffer_store_dword v248, off, s[60:63], 0 offset:8 ; 4-byte Folded Spill
	v_addc_co_u32_e64 v65, s[2:3], 0, v61, s[2:3]
	global_load_dwordx4 v[114:117], v[64:65], off offset:3248
	global_load_dwordx4 v[140:143], v[62:63], off offset:32
	;; [unrolled: 1-line block ×3, first 2 shown]
	s_movk_i32 s2, 0x3300
	s_movk_i32 s18, 0x3000
	;; [unrolled: 1-line block ×4, first 2 shown]
	s_waitcnt vmcnt(2) lgkmcnt(14)
	v_mul_f64 v[62:63], v[18:19], v[116:117]
	v_fma_f64 v[62:63], v[16:17], v[114:115], -v[62:63]
	v_mul_f64 v[16:17], v[16:17], v[116:117]
	v_fma_f64 v[16:17], v[18:19], v[114:115], v[16:17]
	s_waitcnt vmcnt(0) lgkmcnt(13)
	v_mul_f64 v[18:19], v[22:23], v[146:147]
	v_fma_f64 v[18:19], v[20:21], v[144:145], -v[18:19]
	v_mul_f64 v[20:21], v[20:21], v[146:147]
	v_add_f64 v[18:19], v[12:13], -v[18:19]
	v_fma_f64 v[20:21], v[22:23], v[144:145], v[20:21]
	s_waitcnt lgkmcnt(12)
	v_mul_f64 v[22:23], v[26:27], v[142:143]
	v_fma_f64 v[12:13], v[12:13], 2.0, -v[18:19]
	v_add_f64 v[20:21], v[14:15], -v[20:21]
	v_fma_f64 v[22:23], v[24:25], v[140:141], -v[22:23]
	v_mul_f64 v[24:25], v[24:25], v[142:143]
	v_fma_f64 v[14:15], v[14:15], 2.0, -v[20:21]
	v_add_f64 v[22:23], v[62:63], -v[22:23]
	v_fma_f64 v[24:25], v[26:27], v[140:141], v[24:25]
	v_add_co_u32_e64 v26, s[2:3], s2, v60
	v_addc_co_u32_e64 v27, s[2:3], 0, v61, s[2:3]
	v_add_co_u32_e64 v64, s[2:3], s18, v60
	v_addc_co_u32_e64 v65, s[2:3], 0, v61, s[2:3]
	global_load_dwordx4 v[156:159], v[64:65], off offset:768
	global_load_dwordx4 v[160:163], v[26:27], off offset:32
	;; [unrolled: 1-line block ×3, first 2 shown]
	s_movk_i32 s2, 0x4950
	v_add_f64 v[24:25], v[16:17], -v[24:25]
	v_add_f64 v[210:211], v[20:21], v[22:23]
	v_fma_f64 v[16:17], v[16:17], 2.0, -v[24:25]
	v_add_f64 v[208:209], v[18:19], -v[24:25]
	v_fma_f64 v[218:219], v[20:21], 2.0, -v[210:211]
	v_add_f64 v[214:215], v[14:15], -v[16:17]
	v_fma_f64 v[216:217], v[18:19], 2.0, -v[208:209]
	v_fma_f64 v[206:207], v[14:15], 2.0, -v[214:215]
	s_waitcnt vmcnt(2) lgkmcnt(10)
	v_mul_f64 v[26:27], v[34:35], v[158:159]
	v_fma_f64 v[26:27], v[32:33], v[156:157], -v[26:27]
	v_mul_f64 v[32:33], v[32:33], v[158:159]
	v_fma_f64 v[32:33], v[34:35], v[156:157], v[32:33]
	s_waitcnt vmcnt(0) lgkmcnt(9)
	v_mul_f64 v[34:35], v[38:39], v[166:167]
	v_fma_f64 v[34:35], v[36:37], v[164:165], -v[34:35]
	v_mul_f64 v[36:37], v[36:37], v[166:167]
	v_fma_f64 v[36:37], v[38:39], v[164:165], v[36:37]
	s_waitcnt lgkmcnt(8)
	v_mul_f64 v[38:39], v[42:43], v[162:163]
	v_add_f64 v[14:15], v[10:11], -v[36:37]
	v_fma_f64 v[38:39], v[40:41], v[160:161], -v[38:39]
	v_mul_f64 v[40:41], v[40:41], v[162:163]
	v_fma_f64 v[10:11], v[10:11], 2.0, -v[14:15]
	v_add_f64 v[16:17], v[26:27], -v[38:39]
	v_fma_f64 v[40:41], v[42:43], v[160:161], v[40:41]
	v_add_co_u32_e64 v42, s[2:3], s2, v60
	v_addc_co_u32_e64 v43, s[2:3], 0, v61, s[2:3]
	v_add_co_u32_e64 v64, s[2:3], s17, v60
	v_addc_co_u32_e64 v65, s[2:3], 0, v61, s[2:3]
	global_load_dwordx4 v[188:191], v[64:65], off offset:2384
	global_load_dwordx4 v[176:179], v[42:43], off offset:32
	;; [unrolled: 1-line block ×3, first 2 shown]
	s_movk_i32 s2, 0x5fa0
	v_add_f64 v[18:19], v[32:33], -v[40:41]
	v_fma_f64 v[20:21], v[26:27], 2.0, -v[16:17]
	v_add_f64 v[238:239], v[14:15], v[16:17]
	v_fma_f64 v[234:235], v[14:15], 2.0, -v[238:239]
	s_waitcnt vmcnt(2) lgkmcnt(6)
	v_mul_f64 v[42:43], v[46:47], v[190:191]
	v_fma_f64 v[42:43], v[44:45], v[188:189], -v[42:43]
	v_mul_f64 v[44:45], v[44:45], v[190:191]
	v_fma_f64 v[44:45], v[46:47], v[188:189], v[44:45]
	s_waitcnt vmcnt(0) lgkmcnt(5)
	v_mul_f64 v[46:47], v[50:51], v[186:187]
	v_fma_f64 v[46:47], v[48:49], v[184:185], -v[46:47]
	v_mul_f64 v[48:49], v[48:49], v[186:187]
	v_fma_f64 v[48:49], v[50:51], v[184:185], v[48:49]
	s_waitcnt lgkmcnt(4)
	v_mul_f64 v[50:51], v[54:55], v[178:179]
	v_fma_f64 v[50:51], v[52:53], v[176:177], -v[50:51]
	v_mul_f64 v[52:53], v[52:53], v[178:179]
	v_fma_f64 v[52:53], v[54:55], v[176:177], v[52:53]
	v_add_co_u32_e64 v54, s[2:3], s2, v60
	v_addc_co_u32_e64 v55, s[2:3], 0, v61, s[2:3]
	v_add_co_u32_e64 v60, s[2:3], s16, v60
	v_addc_co_u32_e64 v61, s[2:3], 0, v61, s[2:3]
	global_load_dwordx4 v[192:195], v[60:61], off offset:4000
	global_load_dwordx4 v[180:183], v[54:55], off offset:32
	;; [unrolled: 1-line block ×3, first 2 shown]
	v_add_f64 v[14:15], v[44:45], -v[52:53]
	s_waitcnt vmcnt(2) lgkmcnt(2)
	v_mul_f64 v[54:55], v[150:151], v[194:195]
	v_mul_f64 v[60:61], v[148:149], v[194:195]
	s_waitcnt vmcnt(0) lgkmcnt(1)
	v_mul_f64 v[64:65], v[58:59], v[198:199]
	v_fma_f64 v[54:55], v[148:149], v[192:193], -v[54:55]
	v_fma_f64 v[60:61], v[150:151], v[192:193], v[60:61]
	v_fma_f64 v[64:65], v[56:57], v[196:197], -v[64:65]
	v_mul_f64 v[56:57], v[56:57], v[198:199]
	v_fma_f64 v[56:57], v[58:59], v[196:197], v[56:57]
	s_waitcnt lgkmcnt(0)
	v_mul_f64 v[58:59], v[30:31], v[182:183]
	v_fma_f64 v[58:59], v[28:29], v[180:181], -v[58:59]
	v_mul_f64 v[28:29], v[28:29], v[182:183]
	v_fma_f64 v[28:29], v[30:31], v[180:181], v[28:29]
	v_fma_f64 v[30:31], v[62:63], 2.0, -v[22:23]
	v_fma_f64 v[22:23], v[32:33], 2.0, -v[18:19]
	v_add_f64 v[212:213], v[12:13], -v[30:31]
	v_add_f64 v[222:223], v[10:11], -v[22:23]
	v_fma_f64 v[204:205], v[12:13], 2.0, -v[212:213]
	v_add_f64 v[12:13], v[8:9], -v[34:35]
	v_fma_f64 v[230:231], v[10:11], 2.0, -v[222:223]
	;; [unrolled: 2-line block ×4, first 2 shown]
	v_fma_f64 v[18:19], v[44:45], 2.0, -v[14:15]
	v_add_f64 v[220:221], v[8:9], -v[20:21]
	v_fma_f64 v[232:233], v[12:13], 2.0, -v[236:237]
	v_add_f64 v[12:13], v[42:43], -v[50:51]
	v_add_f64 v[246:247], v[6:7], -v[18:19]
	v_fma_f64 v[228:229], v[8:9], 2.0, -v[220:221]
	v_add_f64 v[8:9], v[4:5], -v[46:47]
	v_fma_f64 v[16:17], v[42:43], 2.0, -v[12:13]
	v_add_f64 v[254:255], v[10:11], v[12:13]
	v_fma_f64 v[242:243], v[6:7], 2.0, -v[246:247]
	v_add_f64 v[6:7], v[2:3], -v[56:57]
	v_fma_f64 v[4:5], v[4:5], 2.0, -v[8:9]
	v_add_f64 v[252:253], v[8:9], -v[14:15]
	;; [unrolled: 2-line block ×5, first 2 shown]
	v_fma_f64 v[14:15], v[60:61], 2.0, -v[10:11]
	v_fma_f64 v[240:241], v[4:5], 2.0, -v[244:245]
	v_add_f64 v[4:5], v[0:1], -v[64:65]
	v_fma_f64 v[12:13], v[54:55], 2.0, -v[8:9]
	v_add_f64 v[154:155], v[2:3], -v[14:15]
	v_add_f64 v[170:171], v[6:7], v[8:9]
	v_fma_f64 v[0:1], v[0:1], 2.0, -v[4:5]
	v_add_f64 v[168:169], v[4:5], -v[10:11]
	v_fma_f64 v[150:151], v[2:3], 2.0, -v[154:155]
	v_fma_f64 v[174:175], v[6:7], 2.0, -v[170:171]
	v_add_f64 v[152:153], v[0:1], -v[12:13]
	v_fma_f64 v[172:173], v[4:5], 2.0, -v[168:169]
	v_fma_f64 v[148:149], v[0:1], 2.0, -v[152:153]
	ds_write_b128 v73, v[204:207]
	ds_write_b128 v73, v[216:219] offset:7616
	ds_write_b128 v73, v[212:215] offset:15232
	;; [unrolled: 1-line block ×15, first 2 shown]
	s_waitcnt lgkmcnt(0)
	s_barrier
	s_and_saveexec_b64 s[8:9], vcc
	s_cbranch_execz .LBB0_13
; %bb.12:
	s_add_u32 s10, s12, 0x7700
	s_addc_u32 s11, s13, 0
	global_load_dwordx4 v[6:9], v72, s[10:11]
	ds_read_b128 v[2:5], v73
	v_add_co_u32_e64 v1, s[2:3], s10, v72
	v_mov_b32_e32 v0, s11
	v_addc_co_u32_e64 v0, s[2:3], 0, v0, s[2:3]
	v_add_co_u32_e64 v14, s[2:3], s19, v1
	v_addc_co_u32_e64 v15, s[2:3], 0, v0, s[2:3]
	s_movk_i32 s2, 0x2000
	s_waitcnt vmcnt(0) lgkmcnt(0)
	v_mul_f64 v[10:11], v[4:5], v[8:9]
	v_fma_f64 v[10:11], v[2:3], v[6:7], -v[10:11]
	v_mul_f64 v[2:3], v[2:3], v[8:9]
	v_fma_f64 v[12:13], v[4:5], v[6:7], v[2:3]
	global_load_dwordx4 v[6:9], v72, s[10:11] offset:1792
	ds_write_b128 v73, v[10:13]
	ds_read_b128 v[2:5], v72 offset:1792
	s_waitcnt vmcnt(0) lgkmcnt(0)
	v_mul_f64 v[10:11], v[4:5], v[8:9]
	v_fma_f64 v[10:11], v[2:3], v[6:7], -v[10:11]
	v_mul_f64 v[2:3], v[2:3], v[8:9]
	v_fma_f64 v[12:13], v[4:5], v[6:7], v[2:3]
	ds_read_b128 v[2:5], v72 offset:3584
	global_load_dwordx4 v[6:9], v72, s[10:11] offset:3584
	ds_write_b128 v72, v[10:13] offset:1792
	s_waitcnt vmcnt(0) lgkmcnt(1)
	v_mul_f64 v[10:11], v[4:5], v[8:9]
	v_fma_f64 v[10:11], v[2:3], v[6:7], -v[10:11]
	v_mul_f64 v[2:3], v[2:3], v[8:9]
	v_fma_f64 v[12:13], v[4:5], v[6:7], v[2:3]
	global_load_dwordx4 v[6:9], v[14:15], off offset:1280
	ds_read_b128 v[2:5], v72 offset:5376
	ds_write_b128 v72, v[10:13] offset:3584
	s_waitcnt vmcnt(0) lgkmcnt(1)
	v_mul_f64 v[10:11], v[4:5], v[8:9]
	v_fma_f64 v[10:11], v[2:3], v[6:7], -v[10:11]
	v_mul_f64 v[2:3], v[2:3], v[8:9]
	v_fma_f64 v[12:13], v[4:5], v[6:7], v[2:3]
	global_load_dwordx4 v[6:9], v[14:15], off offset:3072
	ds_read_b128 v[2:5], v72 offset:7168
	v_add_co_u32_e64 v14, s[2:3], s2, v1
	v_addc_co_u32_e64 v15, s[2:3], 0, v0, s[2:3]
	ds_write_b128 v72, v[10:13] offset:5376
	s_waitcnt vmcnt(0) lgkmcnt(1)
	v_mul_f64 v[10:11], v[4:5], v[8:9]
	v_fma_f64 v[10:11], v[2:3], v[6:7], -v[10:11]
	v_mul_f64 v[2:3], v[2:3], v[8:9]
	v_fma_f64 v[12:13], v[4:5], v[6:7], v[2:3]
	global_load_dwordx4 v[6:9], v[14:15], off offset:768
	ds_read_b128 v[2:5], v72 offset:8960
	ds_write_b128 v72, v[10:13] offset:7168
	s_waitcnt vmcnt(0) lgkmcnt(1)
	v_mul_f64 v[10:11], v[4:5], v[8:9]
	v_fma_f64 v[10:11], v[2:3], v[6:7], -v[10:11]
	v_mul_f64 v[2:3], v[2:3], v[8:9]
	v_fma_f64 v[12:13], v[4:5], v[6:7], v[2:3]
	global_load_dwordx4 v[6:9], v[14:15], off offset:2560
	ds_read_b128 v[2:5], v72 offset:10752
	v_add_co_u32_e64 v14, s[2:3], s18, v1
	v_addc_co_u32_e64 v15, s[2:3], 0, v0, s[2:3]
	ds_write_b128 v72, v[10:13] offset:8960
	s_waitcnt vmcnt(0) lgkmcnt(1)
	v_mul_f64 v[10:11], v[4:5], v[8:9]
	v_fma_f64 v[10:11], v[2:3], v[6:7], -v[10:11]
	v_mul_f64 v[2:3], v[2:3], v[8:9]
	v_fma_f64 v[12:13], v[4:5], v[6:7], v[2:3]
	global_load_dwordx4 v[6:9], v[14:15], off offset:256
	ds_read_b128 v[2:5], v72 offset:12544
	ds_write_b128 v72, v[10:13] offset:10752
	s_waitcnt vmcnt(0) lgkmcnt(1)
	v_mul_f64 v[10:11], v[4:5], v[8:9]
	v_fma_f64 v[10:11], v[2:3], v[6:7], -v[10:11]
	v_mul_f64 v[2:3], v[2:3], v[8:9]
	v_fma_f64 v[12:13], v[4:5], v[6:7], v[2:3]
	v_or_b32_e32 v6, 0x3800, v72
	global_load_dwordx4 v[6:9], v6, s[10:11]
	ds_read_b128 v[2:5], v72 offset:14336
	ds_write_b128 v72, v[10:13] offset:12544
	s_waitcnt vmcnt(0) lgkmcnt(1)
	v_mul_f64 v[10:11], v[4:5], v[8:9]
	v_fma_f64 v[10:11], v[2:3], v[6:7], -v[10:11]
	v_mul_f64 v[2:3], v[2:3], v[8:9]
	v_fma_f64 v[12:13], v[4:5], v[6:7], v[2:3]
	global_load_dwordx4 v[6:9], v[14:15], off offset:3840
	ds_read_b128 v[2:5], v72 offset:16128
	v_add_co_u32_e64 v14, s[2:3], s17, v1
	v_addc_co_u32_e64 v15, s[2:3], 0, v0, s[2:3]
	ds_write_b128 v72, v[10:13] offset:14336
	s_waitcnt vmcnt(0) lgkmcnt(1)
	v_mul_f64 v[10:11], v[4:5], v[8:9]
	v_fma_f64 v[10:11], v[2:3], v[6:7], -v[10:11]
	v_mul_f64 v[2:3], v[2:3], v[8:9]
	v_fma_f64 v[12:13], v[4:5], v[6:7], v[2:3]
	global_load_dwordx4 v[6:9], v[14:15], off offset:1536
	ds_read_b128 v[2:5], v72 offset:17920
	ds_write_b128 v72, v[10:13] offset:16128
	s_waitcnt vmcnt(0) lgkmcnt(1)
	v_mul_f64 v[10:11], v[4:5], v[8:9]
	v_fma_f64 v[10:11], v[2:3], v[6:7], -v[10:11]
	v_mul_f64 v[2:3], v[2:3], v[8:9]
	v_fma_f64 v[12:13], v[4:5], v[6:7], v[2:3]
	global_load_dwordx4 v[6:9], v[14:15], off offset:3328
	ds_read_b128 v[2:5], v72 offset:19712
	v_add_co_u32_e64 v14, s[2:3], s16, v1
	v_addc_co_u32_e64 v15, s[2:3], 0, v0, s[2:3]
	s_movk_i32 s2, 0x6000
	ds_write_b128 v72, v[10:13] offset:17920
	s_waitcnt vmcnt(0) lgkmcnt(1)
	v_mul_f64 v[10:11], v[4:5], v[8:9]
	v_fma_f64 v[10:11], v[2:3], v[6:7], -v[10:11]
	v_mul_f64 v[2:3], v[2:3], v[8:9]
	v_fma_f64 v[12:13], v[4:5], v[6:7], v[2:3]
	global_load_dwordx4 v[6:9], v[14:15], off offset:1024
	ds_read_b128 v[2:5], v72 offset:21504
	ds_write_b128 v72, v[10:13] offset:19712
	s_waitcnt vmcnt(0) lgkmcnt(1)
	v_mul_f64 v[10:11], v[4:5], v[8:9]
	v_fma_f64 v[10:11], v[2:3], v[6:7], -v[10:11]
	v_mul_f64 v[2:3], v[2:3], v[8:9]
	v_fma_f64 v[12:13], v[4:5], v[6:7], v[2:3]
	global_load_dwordx4 v[6:9], v[14:15], off offset:2816
	ds_read_b128 v[2:5], v72 offset:23296
	ds_write_b128 v72, v[10:13] offset:21504
	s_waitcnt vmcnt(0) lgkmcnt(1)
	v_mul_f64 v[10:11], v[4:5], v[8:9]
	v_fma_f64 v[10:11], v[2:3], v[6:7], -v[10:11]
	v_mul_f64 v[2:3], v[2:3], v[8:9]
	v_fma_f64 v[12:13], v[4:5], v[6:7], v[2:3]
	ds_read_b128 v[2:5], v72 offset:25088
	ds_write_b128 v72, v[10:13] offset:23296
	v_add_co_u32_e64 v10, s[2:3], s2, v1
	v_addc_co_u32_e64 v11, s[2:3], 0, v0, s[2:3]
	global_load_dwordx4 v[6:9], v[10:11], off offset:512
	s_waitcnt vmcnt(0) lgkmcnt(1)
	v_mul_f64 v[0:1], v[4:5], v[8:9]
	v_fma_f64 v[0:1], v[2:3], v[6:7], -v[0:1]
	v_mul_f64 v[2:3], v[2:3], v[8:9]
	v_fma_f64 v[2:3], v[4:5], v[6:7], v[2:3]
	global_load_dwordx4 v[4:7], v[10:11], off offset:2304
	ds_write_b128 v72, v[0:3] offset:25088
	ds_read_b128 v[0:3], v72 offset:26880
	s_waitcnt vmcnt(0) lgkmcnt(0)
	v_mul_f64 v[8:9], v[2:3], v[6:7]
	v_fma_f64 v[8:9], v[0:1], v[4:5], -v[8:9]
	v_mul_f64 v[0:1], v[0:1], v[6:7]
	v_fma_f64 v[10:11], v[2:3], v[4:5], v[0:1]
	v_or_b32_e32 v4, 0x7000, v72
	global_load_dwordx4 v[4:7], v4, s[10:11]
	ds_read_b128 v[0:3], v72 offset:28672
	ds_write_b128 v72, v[8:11] offset:26880
	s_waitcnt vmcnt(0) lgkmcnt(1)
	v_mul_f64 v[8:9], v[2:3], v[6:7]
	v_fma_f64 v[8:9], v[0:1], v[4:5], -v[8:9]
	v_mul_f64 v[0:1], v[0:1], v[6:7]
	v_fma_f64 v[10:11], v[2:3], v[4:5], v[0:1]
	ds_write_b128 v72, v[8:11] offset:28672
.LBB0_13:
	s_or_b64 exec, exec, s[8:9]
	s_waitcnt lgkmcnt(0)
	s_barrier
	s_and_saveexec_b64 s[2:3], vcc
	s_cbranch_execz .LBB0_15
; %bb.14:
	ds_read_b128 v[204:207], v73
	ds_read_b128 v[216:219], v73 offset:1792
	ds_read_b128 v[212:215], v73 offset:3584
	;; [unrolled: 1-line block ×16, first 2 shown]
.LBB0_15:
	s_or_b64 exec, exec, s[2:3]
	s_waitcnt lgkmcnt(0)
	v_add_f64 v[10:11], v[218:219], -v[202:203]
	s_mov_b32 s38, 0x5d8e7cdc
	s_mov_b32 s39, 0xbfd71e95
	v_add_f64 v[0:1], v[200:201], v[216:217]
	v_add_f64 v[4:5], v[202:203], v[218:219]
	s_mov_b32 s2, 0x370991
	s_mov_b32 s3, 0x3fedd6d0
	v_add_f64 v[8:9], v[216:217], -v[200:201]
	v_mul_f64 v[58:59], v[10:11], s[38:39]
	v_add_f64 v[16:17], v[214:215], -v[170:171]
	s_mov_b32 s16, 0x2a9d6da3
	s_mov_b32 s17, 0xbfe58eea
	v_mul_f64 v[74:75], v[4:5], s[2:3]
	v_add_f64 v[12:13], v[170:171], v[214:215]
	s_mov_b32 s8, 0x75d4884
	s_mov_b32 s9, 0x3fe7a5f6
	v_fma_f64 v[2:3], v[0:1], s[2:3], -v[58:59]
	v_mul_f64 v[76:77], v[16:17], s[16:17]
	v_add_f64 v[18:19], v[212:213], -v[168:169]
	v_add_f64 v[24:25], v[210:211], -v[154:155]
	v_add_f64 v[48:49], v[254:255], v[222:223]
	v_mul_f64 v[78:79], v[12:13], s[8:9]
	s_mov_b32 s46, 0x7c9e640b
	s_mov_b32 s47, 0xbfeca52d
	v_add_f64 v[6:7], v[204:205], v[2:3]
	v_fma_f64 v[2:3], v[8:9], s[38:39], v[74:75]
	s_mov_b32 s26, 0x6ed5f1bb
	v_add_f64 v[22:23], v[210:211], v[154:155]
	v_mul_f64 v[80:81], v[24:25], s[46:47]
	s_mov_b32 s27, 0xbfe348c8
	v_mul_f64 v[50:51], v[48:49], s[26:27]
	s_mov_b32 s10, 0x2b2883cd
	s_mov_b32 s11, 0x3fdc86fa
	v_add_f64 v[14:15], v[206:207], v[2:3]
	v_add_f64 v[2:3], v[168:169], v[212:213]
	v_add_f64 v[34:35], v[208:209], -v[152:153]
	v_mul_f64 v[82:83], v[22:23], s[10:11]
	buffer_store_dword v50, off, s[60:63], 0 offset:544 ; 4-byte Folded Spill
	s_nop 0
	buffer_store_dword v51, off, s[60:63], 0 offset:548 ; 4-byte Folded Spill
	v_add_f64 v[36:37], v[230:231], -v[174:175]
	s_mov_b32 s24, 0xeb564b22
	s_mov_b32 s25, 0xbfefdd0d
	v_fma_f64 v[20:21], v[2:3], s[8:9], -v[76:77]
	s_mov_b32 s18, 0x3259b75e
	s_mov_b32 s19, 0x3fb79ee6
	v_add_f64 v[40:41], v[228:229], -v[172:173]
	v_add_f64 v[44:45], v[234:235], -v[150:151]
	v_mul_f64 v[84:85], v[36:37], s[24:25]
	s_mov_b32 s36, 0x923c349f
	s_mov_b32 s37, 0xbfeec746
	v_add_f64 v[20:21], v[20:21], v[6:7]
	v_fma_f64 v[6:7], v[18:19], s[16:17], v[78:79]
	v_add_f64 v[38:39], v[150:151], v[234:235]
	s_mov_b32 s20, 0xc61f0d01
	v_mul_f64 v[88:89], v[44:45], s[36:37]
	s_mov_b32 s21, 0xbfd183b1
	v_add_f64 v[46:47], v[232:233], -v[148:149]
	v_add_f64 v[52:53], v[222:223], -v[254:255]
	s_mov_b32 s30, 0x6c9a05f6
	v_add_f64 v[14:15], v[6:7], v[14:15]
	v_add_f64 v[6:7], v[208:209], v[152:153]
	v_mul_f64 v[90:91], v[38:39], s[20:21]
	s_mov_b32 s31, 0xbfe9895b
	v_add_f64 v[54:55], v[220:221], -v[252:253]
	v_add_f64 v[62:63], v[238:239], -v[246:247]
	v_mul_f64 v[92:93], v[52:53], s[30:31]
	s_mov_b32 s42, 0x4363dd80
	s_mov_b32 s43, 0xbfe0d888
	v_fma_f64 v[26:27], v[6:7], s[10:11], -v[80:81]
	v_add_f64 v[60:61], v[238:239], v[246:247]
	s_mov_b32 s28, 0x910ea3b9
	s_mov_b32 s29, 0xbfeb34fa
	v_add_f64 v[66:67], v[236:237], -v[244:245]
	v_add_f64 v[68:69], v[242:243], -v[250:251]
	s_mov_b32 s40, 0xacd6c6b4
	s_mov_b32 s41, 0xbfc7851a
	v_add_f64 v[20:21], v[26:27], v[20:21]
	v_fma_f64 v[26:27], v[34:35], s[46:47], v[82:83]
	v_mul_f64 v[56:57], v[60:61], s[28:29]
	v_add_f64 v[64:65], v[242:243], v[250:251]
	s_mov_b32 s34, 0x7faef3
	s_mov_b32 s35, 0xbfef7484
	v_add_f64 v[70:71], v[240:241], -v[248:249]
	v_add_f64 v[28:29], v[26:27], v[14:15]
	v_add_f64 v[14:15], v[228:229], v[172:173]
	;; [unrolled: 1-line block ×3, first 2 shown]
	v_mul_f64 v[226:227], v[64:65], s[34:35]
	v_fma_f64 v[30:31], v[14:15], s[18:19], -v[84:85]
	v_mul_f64 v[86:87], v[26:27], s[18:19]
	v_add_f64 v[30:31], v[30:31], v[20:21]
	v_fma_f64 v[20:21], v[40:41], s[24:25], v[86:87]
	v_add_f64 v[28:29], v[20:21], v[28:29]
	v_add_f64 v[20:21], v[148:149], v[232:233]
	v_fma_f64 v[32:33], v[20:21], s[20:21], -v[88:89]
	v_add_f64 v[30:31], v[32:33], v[30:31]
	v_fma_f64 v[32:33], v[46:47], s[36:37], v[90:91]
	v_add_f64 v[28:29], v[32:33], v[28:29]
	v_add_f64 v[32:33], v[252:253], v[220:221]
	v_fma_f64 v[42:43], v[32:33], s[26:27], -v[92:93]
	v_add_f64 v[30:31], v[42:43], v[30:31]
	v_fma_f64 v[42:43], v[54:55], s[30:31], v[50:51]
	v_mul_f64 v[50:51], v[62:63], s[42:43]
	buffer_store_dword v50, off, s[60:63], 0 offset:552 ; 4-byte Folded Spill
	s_nop 0
	buffer_store_dword v51, off, s[60:63], 0 offset:556 ; 4-byte Folded Spill
	buffer_store_dword v56, off, s[60:63], 0 offset:560 ; 4-byte Folded Spill
	s_nop 0
	buffer_store_dword v57, off, s[60:63], 0 offset:564 ; 4-byte Folded Spill
	v_add_f64 v[28:29], v[42:43], v[28:29]
	v_add_f64 v[42:43], v[236:237], v[244:245]
	v_fma_f64 v[50:51], v[42:43], s[28:29], -v[50:51]
	v_add_f64 v[30:31], v[50:51], v[30:31]
	v_fma_f64 v[50:51], v[66:67], s[42:43], v[56:57]
	v_mul_f64 v[56:57], v[68:69], s[40:41]
	buffer_store_dword v56, off, s[60:63], 0 offset:568 ; 4-byte Folded Spill
	s_nop 0
	buffer_store_dword v57, off, s[60:63], 0 offset:572 ; 4-byte Folded Spill
	buffer_store_dword v226, off, s[60:63], 0 offset:576 ; 4-byte Folded Spill
	s_nop 0
	buffer_store_dword v227, off, s[60:63], 0 offset:580 ; 4-byte Folded Spill
	v_add_f64 v[28:29], v[50:51], v[28:29]
	v_add_f64 v[50:51], v[240:241], v[248:249]
	s_waitcnt vmcnt(0)
	s_barrier
	v_fma_f64 v[56:57], v[50:51], s[34:35], -v[56:57]
	v_add_f64 v[224:225], v[56:57], v[30:31]
	v_fma_f64 v[30:31], v[70:71], s[40:41], v[226:227]
	v_add_f64 v[226:227], v[30:31], v[28:29]
	s_and_saveexec_b64 s[22:23], vcc
	s_cbranch_execz .LBB0_17
; %bb.16:
	buffer_store_dword v58, off, s[60:63], 0 offset:664 ; 4-byte Folded Spill
	s_nop 0
	buffer_store_dword v59, off, s[60:63], 0 offset:668 ; 4-byte Folded Spill
	buffer_store_dword v74, off, s[60:63], 0 offset:696 ; 4-byte Folded Spill
	s_nop 0
	buffer_store_dword v75, off, s[60:63], 0 offset:700 ; 4-byte Folded Spill
	;; [unrolled: 3-line block ×5, first 2 shown]
	v_mul_f64 v[74:75], v[8:9], s[40:41]
	v_mul_f64 v[80:81], v[10:11], s[40:41]
	s_mov_b32 s49, 0x3fd71e95
	s_mov_b32 s48, s38
	buffer_store_dword v82, off, s[60:63], 0 offset:744 ; 4-byte Folded Spill
	s_nop 0
	buffer_store_dword v83, off, s[60:63], 0 offset:748 ; 4-byte Folded Spill
	buffer_store_dword v84, off, s[60:63], 0 offset:720 ; 4-byte Folded Spill
	s_nop 0
	buffer_store_dword v85, off, s[60:63], 0 offset:724 ; 4-byte Folded Spill
	buffer_store_dword v86, off, s[60:63], 0 offset:728 ; 4-byte Folded Spill
	s_nop 0
	buffer_store_dword v87, off, s[60:63], 0 offset:732 ; 4-byte Folded Spill
	buffer_store_dword v88, off, s[60:63], 0 offset:704 ; 4-byte Folded Spill
	s_nop 0
	buffer_store_dword v89, off, s[60:63], 0 offset:708 ; 4-byte Folded Spill
	buffer_store_dword v90, off, s[60:63], 0 offset:712 ; 4-byte Folded Spill
	s_nop 0
	buffer_store_dword v91, off, s[60:63], 0 offset:716 ; 4-byte Folded Spill
	buffer_store_dword v92, off, s[60:63], 0 offset:688 ; 4-byte Folded Spill
	s_nop 0
	buffer_store_dword v93, off, s[60:63], 0 offset:692 ; 4-byte Folded Spill
	v_mul_f64 v[82:83], v[18:19], s[48:49]
	v_fma_f64 v[86:87], v[4:5], s[34:35], v[74:75]
	v_mul_f64 v[90:91], v[16:17], s[48:49]
	v_fma_f64 v[92:93], v[0:1], s[34:35], -v[80:81]
	buffer_store_dword v94, off, s[60:63], 0 offset:584 ; 4-byte Folded Spill
	s_nop 0
	buffer_store_dword v95, off, s[60:63], 0 offset:588 ; 4-byte Folded Spill
	buffer_store_dword v96, off, s[60:63], 0 offset:592 ; 4-byte Folded Spill
	buffer_store_dword v97, off, s[60:63], 0 offset:596 ; 4-byte Folded Spill
	buffer_store_dword v98, off, s[60:63], 0 offset:600 ; 4-byte Folded Spill
	s_nop 0
	buffer_store_dword v99, off, s[60:63], 0 offset:604 ; 4-byte Folded Spill
	buffer_store_dword v100, off, s[60:63], 0 offset:608 ; 4-byte Folded Spill
	buffer_store_dword v101, off, s[60:63], 0 offset:612 ; 4-byte Folded Spill
	;; [unrolled: 5-line block ×3, first 2 shown]
	v_mul_f64 v[88:89], v[34:35], s[42:43]
	v_fma_f64 v[94:95], v[12:13], s[2:3], v[82:83]
	v_fma_f64 v[74:75], v[4:5], s[34:35], -v[74:75]
	v_add_f64 v[86:87], v[206:207], v[86:87]
	v_mul_f64 v[100:101], v[24:25], s[42:43]
	v_fma_f64 v[102:103], v[2:3], s[2:3], -v[90:91]
	v_add_f64 v[92:93], v[204:205], v[92:93]
	s_mov_b32 s53, 0x3fe58eea
	s_mov_b32 s52, s16
	buffer_store_dword v106, off, s[60:63], 0 offset:632 ; 4-byte Folded Spill
	s_nop 0
	buffer_store_dword v107, off, s[60:63], 0 offset:636 ; 4-byte Folded Spill
	buffer_store_dword v108, off, s[60:63], 0 offset:640 ; 4-byte Folded Spill
	;; [unrolled: 1-line block ×3, first 2 shown]
	v_mul_f64 v[96:97], v[40:41], s[52:53]
	v_fma_f64 v[98:99], v[22:23], s[28:29], v[88:89]
	v_fma_f64 v[82:83], v[12:13], s[2:3], -v[82:83]
	v_add_f64 v[74:75], v[206:207], v[74:75]
	v_add_f64 v[86:87], v[94:95], v[86:87]
	v_fma_f64 v[80:81], v[0:1], s[34:35], v[80:81]
	v_mul_f64 v[104:105], v[36:37], s[52:53]
	v_fma_f64 v[106:107], v[6:7], s[28:29], -v[100:101]
	v_add_f64 v[92:93], v[102:103], v[92:93]
	v_mul_f64 v[58:59], v[46:47], s[30:31]
	v_fma_f64 v[94:95], v[26:27], s[8:9], v[96:97]
	v_fma_f64 v[88:89], v[22:23], s[28:29], -v[88:89]
	v_add_f64 v[74:75], v[82:83], v[74:75]
	v_add_f64 v[82:83], v[98:99], v[86:87]
	v_fma_f64 v[86:87], v[2:3], s[2:3], v[90:91]
	v_add_f64 v[80:81], v[204:205], v[80:81]
	v_mul_f64 v[90:91], v[44:45], s[30:31]
	v_fma_f64 v[98:99], v[14:15], s[8:9], -v[104:105]
	v_add_f64 v[92:93], v[106:107], v[92:93]
	s_mov_b32 s45, 0x3feca52d
	s_mov_b32 s44, s46
	v_mul_f64 v[30:31], v[54:55], s[44:45]
	v_fma_f64 v[84:85], v[38:39], s[26:27], v[58:59]
	v_fma_f64 v[96:97], v[26:27], s[8:9], -v[96:97]
	v_add_f64 v[74:75], v[88:89], v[74:75]
	v_add_f64 v[82:83], v[94:95], v[82:83]
	v_fma_f64 v[88:89], v[6:7], s[28:29], v[100:101]
	v_add_f64 v[80:81], v[86:87], v[80:81]
	v_mul_f64 v[86:87], v[52:53], s[44:45]
	v_fma_f64 v[94:95], v[20:21], s[26:27], -v[90:91]
	v_add_f64 v[92:93], v[98:99], v[92:93]
	v_mul_f64 v[28:29], v[66:67], s[36:37]
	v_fma_f64 v[78:79], v[48:49], s[10:11], v[30:31]
	v_fma_f64 v[58:59], v[38:39], s[26:27], -v[58:59]
	v_add_f64 v[74:75], v[96:97], v[74:75]
	v_add_f64 v[82:83], v[84:85], v[82:83]
	v_fma_f64 v[84:85], v[14:15], s[8:9], v[104:105]
	v_add_f64 v[80:81], v[88:89], v[80:81]
	v_mul_f64 v[88:89], v[62:63], s[36:37]
	v_fma_f64 v[96:97], v[32:33], s[10:11], -v[86:87]
	v_add_f64 v[92:93], v[94:95], v[92:93]
	s_mov_b32 s57, 0x3fefdd0d
	s_mov_b32 s56, s24
	v_mul_f64 v[56:57], v[70:71], s[56:57]
	v_fma_f64 v[76:77], v[60:61], s[20:21], v[28:29]
	v_fma_f64 v[30:31], v[48:49], s[10:11], -v[30:31]
	v_add_f64 v[58:59], v[58:59], v[74:75]
	v_add_f64 v[74:75], v[78:79], v[82:83]
	v_fma_f64 v[78:79], v[20:21], s[26:27], v[90:91]
	v_add_f64 v[80:81], v[84:85], v[80:81]
	v_mul_f64 v[82:83], v[68:69], s[56:57]
	v_fma_f64 v[84:85], v[42:43], s[20:21], -v[88:89]
	v_add_f64 v[90:91], v[96:97], v[92:93]
	v_fma_f64 v[28:29], v[60:61], s[20:21], -v[28:29]
	v_add_f64 v[30:31], v[30:31], v[58:59]
	v_fma_f64 v[58:59], v[64:65], s[18:19], v[56:57]
	v_add_f64 v[74:75], v[76:77], v[74:75]
	v_add_f64 v[78:79], v[78:79], v[80:81]
	v_fma_f64 v[76:77], v[50:51], s[18:19], -v[82:83]
	v_fma_f64 v[56:57], v[64:65], s[18:19], -v[56:57]
	v_add_f64 v[80:81], v[84:85], v[90:91]
	v_fma_f64 v[86:87], v[32:33], s[10:11], v[86:87]
	v_add_f64 v[28:29], v[28:29], v[30:31]
	v_fma_f64 v[30:31], v[42:43], s[20:21], v[88:89]
	v_add_f64 v[90:91], v[58:59], v[74:75]
	v_mul_f64 v[94:95], v[34:35], s[24:25]
	v_mul_f64 v[100:101], v[16:17], s[44:45]
	s_mov_b32 s59, 0x3fe9895b
	v_add_f64 v[88:89], v[76:77], v[80:81]
	buffer_store_dword v88, off, s[60:63], 0 offset:752 ; 4-byte Folded Spill
	s_nop 0
	buffer_store_dword v89, off, s[60:63], 0 offset:756 ; 4-byte Folded Spill
	buffer_store_dword v90, off, s[60:63], 0 offset:760 ; 4-byte Folded Spill
	;; [unrolled: 1-line block ×4, first 2 shown]
	s_nop 0
	buffer_store_dword v115, off, s[60:63], 0 offset:772 ; 4-byte Folded Spill
	buffer_store_dword v116, off, s[60:63], 0 offset:776 ; 4-byte Folded Spill
	;; [unrolled: 1-line block ×3, first 2 shown]
	v_mov_b32_e32 v114, v132
	v_mov_b32_e32 v115, v133
	;; [unrolled: 1-line block ×16, first 2 shown]
	v_add_f64 v[122:123], v[56:57], v[28:29]
	v_mul_f64 v[28:29], v[8:9], s[42:43]
	v_fma_f64 v[56:57], v[50:51], s[18:19], v[82:83]
	v_mul_f64 v[80:81], v[18:19], s[44:45]
	v_mul_f64 v[88:89], v[10:11], s[42:43]
	s_mov_b32 s58, s30
	v_add_f64 v[78:79], v[86:87], v[78:79]
	v_mul_f64 v[90:91], v[40:41], s[58:59]
	v_fma_f64 v[106:107], v[22:23], s[18:19], v[94:95]
	v_fma_f64 v[82:83], v[4:5], s[28:29], v[28:29]
	v_fma_f64 v[28:29], v[4:5], s[28:29], -v[28:29]
	v_fma_f64 v[96:97], v[12:13], s[10:11], v[80:81]
	v_fma_f64 v[102:103], v[0:1], s[28:29], -v[88:89]
	;; [unrolled: 2-line block ×3, first 2 shown]
	v_fma_f64 v[80:81], v[12:13], s[10:11], -v[80:81]
	v_fma_f64 v[100:101], v[2:3], s[10:11], v[100:101]
	v_add_f64 v[82:83], v[206:207], v[82:83]
	v_add_f64 v[28:29], v[206:207], v[28:29]
	;; [unrolled: 1-line block ×3, first 2 shown]
	v_mul_f64 v[78:79], v[46:47], s[38:39]
	v_add_f64 v[88:89], v[204:205], v[88:89]
	v_fma_f64 v[104:105], v[26:27], s[26:27], v[90:91]
	v_add_f64 v[102:103], v[204:205], v[102:103]
	v_fma_f64 v[94:95], v[22:23], s[18:19], -v[94:95]
	v_add_f64 v[82:83], v[96:97], v[82:83]
	v_mul_f64 v[96:97], v[24:25], s[24:25]
	v_add_f64 v[28:29], v[80:81], v[28:29]
	buffer_store_dword v110, off, s[60:63], 0 offset:648 ; 4-byte Folded Spill
	s_nop 0
	buffer_store_dword v111, off, s[60:63], 0 offset:652 ; 4-byte Folded Spill
	buffer_store_dword v112, off, s[60:63], 0 offset:656 ; 4-byte Folded Spill
	;; [unrolled: 1-line block ×3, first 2 shown]
	v_add_f64 v[88:89], v[100:101], v[88:89]
	v_mul_f64 v[76:77], v[54:55], s[40:41]
	v_fma_f64 v[98:99], v[38:39], s[2:3], v[78:79]
	v_add_f64 v[102:103], v[108:109], v[102:103]
	v_add_f64 v[82:83], v[106:107], v[82:83]
	v_mul_f64 v[106:107], v[36:37], s[58:59]
	v_fma_f64 v[80:81], v[6:7], s[18:19], v[96:97]
	v_fma_f64 v[110:111], v[6:7], s[18:19], -v[96:97]
	v_mul_f64 v[96:97], v[44:45], s[38:39]
	v_fma_f64 v[90:91], v[26:27], s[26:27], -v[90:91]
	v_add_f64 v[28:29], v[94:95], v[28:29]
	v_fma_f64 v[92:93], v[48:49], s[34:35], v[76:77]
	v_add_f64 v[82:83], v[104:105], v[82:83]
	v_fma_f64 v[94:95], v[14:15], s[26:27], v[106:107]
	v_add_f64 v[80:81], v[80:81], v[88:89]
	v_fma_f64 v[100:101], v[14:15], s[26:27], -v[106:107]
	v_add_f64 v[102:103], v[110:111], v[102:103]
	v_mul_f64 v[88:89], v[52:53], s[40:41]
	v_fma_f64 v[78:79], v[38:39], s[2:3], -v[78:79]
	v_add_f64 v[28:29], v[90:91], v[28:29]
	v_add_f64 v[82:83], v[98:99], v[82:83]
	v_fma_f64 v[90:91], v[20:21], s[2:3], v[96:97]
	v_add_f64 v[80:81], v[94:95], v[80:81]
	v_mul_f64 v[86:87], v[66:67], s[52:53]
	v_fma_f64 v[98:99], v[20:21], s[2:3], -v[96:97]
	v_add_f64 v[100:101], v[100:101], v[102:103]
	v_fma_f64 v[76:77], v[48:49], s[34:35], -v[76:77]
	v_add_f64 v[28:29], v[78:79], v[28:29]
	v_add_f64 v[82:83], v[92:93], v[82:83]
	v_mul_f64 v[92:93], v[62:63], s[52:53]
	v_fma_f64 v[78:79], v[32:33], s[34:35], v[88:89]
	v_add_f64 v[80:81], v[90:91], v[80:81]
	v_mul_f64 v[84:85], v[70:71], s[36:37]
	v_fma_f64 v[74:75], v[60:61], s[8:9], v[86:87]
	v_fma_f64 v[94:95], v[32:33], s[34:35], -v[88:89]
	v_add_f64 v[96:97], v[98:99], v[100:101]
	v_add_f64 v[28:29], v[76:77], v[28:29]
	v_fma_f64 v[76:77], v[42:43], s[8:9], v[92:93]
	v_fma_f64 v[88:89], v[42:43], s[8:9], -v[92:93]
	v_add_f64 v[78:79], v[78:79], v[80:81]
	v_fma_f64 v[58:59], v[64:65], s[20:21], v[84:85]
	v_add_f64 v[74:75], v[74:75], v[82:83]
	v_fma_f64 v[86:87], v[60:61], s[8:9], -v[86:87]
	v_add_f64 v[90:91], v[94:95], v[96:97]
	s_mov_b32 s51, 0x3feec746
	s_mov_b32 s50, s36
	v_add_f64 v[120:121], v[56:57], v[30:31]
	v_add_f64 v[76:77], v[76:77], v[78:79]
	v_mul_f64 v[78:79], v[8:9], s[30:31]
	v_add_f64 v[138:139], v[58:59], v[74:75]
	v_fma_f64 v[58:59], v[64:65], s[20:21], -v[84:85]
	v_add_f64 v[56:57], v[88:89], v[90:91]
	v_add_f64 v[28:29], v[86:87], v[28:29]
	v_mul_f64 v[84:85], v[10:11], s[30:31]
	v_mul_f64 v[86:87], v[18:19], s[50:51]
	;; [unrolled: 1-line block ×3, first 2 shown]
	v_fma_f64 v[90:91], v[4:5], s[26:27], v[78:79]
	v_mul_f64 v[98:99], v[16:17], s[50:51]
	v_fma_f64 v[78:79], v[4:5], s[26:27], -v[78:79]
	v_mul_f64 v[104:105], v[40:41], s[42:43]
	v_mul_f64 v[108:109], v[24:25], s[38:39]
	v_fma_f64 v[100:101], v[0:1], s[26:27], -v[84:85]
	v_fma_f64 v[102:103], v[12:13], s[20:21], v[86:87]
	v_fma_f64 v[106:107], v[22:23], s[2:3], v[94:95]
	v_add_f64 v[90:91], v[206:207], v[90:91]
	v_fma_f64 v[110:111], v[2:3], s[20:21], -v[98:99]
	v_fma_f64 v[86:87], v[12:13], s[20:21], -v[86:87]
	v_add_f64 v[78:79], v[206:207], v[78:79]
	buffer_store_dword v120, off, s[60:63], 0 offset:784 ; 4-byte Folded Spill
	s_nop 0
	buffer_store_dword v121, off, s[60:63], 0 offset:788 ; 4-byte Folded Spill
	buffer_store_dword v122, off, s[60:63], 0 offset:792 ; 4-byte Folded Spill
	;; [unrolled: 1-line block ×3, first 2 shown]
	v_add_f64 v[100:101], v[204:205], v[100:101]
	v_mov_b32_e32 v120, v124
	v_mov_b32_e32 v121, v125
	v_add_f64 v[90:91], v[102:103], v[90:91]
	v_mov_b32_e32 v122, v126
	v_mov_b32_e32 v123, v127
	;; [unrolled: 1-line block ×11, first 2 shown]
	v_mul_f64 v[82:83], v[68:69], s[36:37]
	v_mov_b32_e32 v134, v116
	v_mov_b32_e32 v133, v115
	;; [unrolled: 1-line block ×3, first 2 shown]
	v_mul_f64 v[102:103], v[46:47], s[56:57]
	v_fma_f64 v[112:113], v[26:27], s[28:29], v[104:105]
	v_mul_f64 v[114:115], v[36:37], s[42:43]
	v_fma_f64 v[116:117], v[6:7], s[2:3], -v[108:109]
	v_add_f64 v[100:101], v[110:111], v[100:101]
	v_fma_f64 v[94:95], v[22:23], s[2:3], -v[94:95]
	v_add_f64 v[78:79], v[86:87], v[78:79]
	v_add_f64 v[86:87], v[106:107], v[90:91]
	v_fma_f64 v[84:85], v[0:1], s[26:27], v[84:85]
	v_fma_f64 v[30:31], v[50:51], s[20:21], -v[82:83]
	v_fma_f64 v[74:75], v[50:51], s[20:21], v[82:83]
	v_mul_f64 v[82:83], v[54:55], s[16:17]
	v_fma_f64 v[90:91], v[38:39], s[18:19], v[102:103]
	v_mul_f64 v[106:107], v[44:45], s[56:57]
	v_fma_f64 v[110:111], v[14:15], s[28:29], -v[114:115]
	v_add_f64 v[100:101], v[116:117], v[100:101]
	v_fma_f64 v[104:105], v[26:27], s[28:29], -v[104:105]
	v_add_f64 v[78:79], v[94:95], v[78:79]
	v_add_f64 v[86:87], v[112:113], v[86:87]
	v_fma_f64 v[94:95], v[2:3], s[20:21], v[98:99]
	v_add_f64 v[84:85], v[204:205], v[84:85]
	v_fma_f64 v[96:97], v[48:49], s[8:9], v[82:83]
	v_mul_f64 v[98:99], v[52:53], s[16:17]
	v_fma_f64 v[112:113], v[20:21], s[18:19], -v[106:107]
	v_add_f64 v[100:101], v[110:111], v[100:101]
	v_fma_f64 v[102:103], v[38:39], s[18:19], -v[102:103]
	v_add_f64 v[78:79], v[104:105], v[78:79]
	v_add_f64 v[86:87], v[90:91], v[86:87]
	v_fma_f64 v[90:91], v[6:7], s[2:3], v[108:109]
	v_add_f64 v[84:85], v[94:95], v[84:85]
	v_mul_f64 v[80:81], v[66:67], s[40:41]
	v_mul_f64 v[94:95], v[62:63], s[40:41]
	v_fma_f64 v[104:105], v[32:33], s[8:9], -v[98:99]
	v_add_f64 v[100:101], v[112:113], v[100:101]
	v_fma_f64 v[82:83], v[48:49], s[8:9], -v[82:83]
	v_add_f64 v[78:79], v[102:103], v[78:79]
	v_add_f64 v[86:87], v[96:97], v[86:87]
	v_fma_f64 v[96:97], v[14:15], s[28:29], v[114:115]
	v_add_f64 v[84:85], v[90:91], v[84:85]
	v_mul_f64 v[88:89], v[70:71], s[44:45]
	v_fma_f64 v[92:93], v[60:61], s[34:35], v[80:81]
	v_fma_f64 v[102:103], v[42:43], s[34:35], -v[94:95]
	v_add_f64 v[100:101], v[104:105], v[100:101]
	v_fma_f64 v[80:81], v[60:61], s[34:35], -v[80:81]
	v_add_f64 v[78:79], v[82:83], v[78:79]
	v_fma_f64 v[104:105], v[20:21], s[18:19], v[106:107]
	v_add_f64 v[84:85], v[96:97], v[84:85]
	v_add_f64 v[136:137], v[30:31], v[56:57]
	v_fma_f64 v[82:83], v[64:65], s[10:11], v[88:89]
	v_add_f64 v[86:87], v[92:93], v[86:87]
	v_add_f64 v[96:97], v[102:103], v[100:101]
	v_fma_f64 v[88:89], v[64:65], s[10:11], -v[88:89]
	v_add_f64 v[78:79], v[80:81], v[78:79]
	v_fma_f64 v[30:31], v[32:33], s[8:9], v[98:99]
	v_add_f64 v[56:57], v[104:105], v[84:85]
	v_add_f64 v[100:101], v[58:59], v[28:29]
	;; [unrolled: 1-line block ×3, first 2 shown]
	v_mul_f64 v[28:29], v[8:9], s[36:37]
	v_mul_f64 v[76:77], v[10:11], s[36:37]
	buffer_store_dword v136, off, s[60:63], 0 offset:800 ; 4-byte Folded Spill
	s_nop 0
	buffer_store_dword v137, off, s[60:63], 0 offset:804 ; 4-byte Folded Spill
	buffer_store_dword v138, off, s[60:63], 0 offset:808 ; 4-byte Folded Spill
	;; [unrolled: 1-line block ×3, first 2 shown]
	s_mov_b32 s55, 0x3fe0d888
	s_mov_b32 s54, s42
	v_mul_f64 v[90:91], v[68:69], s[44:45]
	v_add_f64 v[138:139], v[82:83], v[86:87]
	v_add_f64 v[112:113], v[88:89], v[78:79]
	;; [unrolled: 1-line block ×3, first 2 shown]
	v_mul_f64 v[56:57], v[18:19], s[54:55]
	v_fma_f64 v[78:79], v[4:5], s[20:21], v[28:29]
	v_mul_f64 v[86:87], v[16:17], s[54:55]
	v_fma_f64 v[88:89], v[0:1], s[20:21], -v[76:77]
	buffer_store_dword v98, off, s[60:63], 0 offset:816 ; 4-byte Folded Spill
	s_nop 0
	buffer_store_dword v99, off, s[60:63], 0 offset:820 ; 4-byte Folded Spill
	buffer_store_dword v100, off, s[60:63], 0 offset:824 ; 4-byte Folded Spill
	;; [unrolled: 1-line block ×3, first 2 shown]
	v_fma_f64 v[92:93], v[50:51], s[10:11], -v[90:91]
	v_mul_f64 v[82:83], v[34:35], s[52:53]
	v_mul_f64 v[98:99], v[24:25], s[52:53]
	v_fma_f64 v[84:85], v[12:13], s[28:29], v[56:57]
	v_add_f64 v[78:79], v[206:207], v[78:79]
	v_fma_f64 v[100:101], v[2:3], s[28:29], -v[86:87]
	v_add_f64 v[88:89], v[204:205], v[88:89]
	v_fma_f64 v[58:59], v[42:43], s[34:35], v[94:95]
	v_add_f64 v[136:137], v[92:93], v[96:97]
	v_mul_f64 v[94:95], v[40:41], s[46:47]
	v_fma_f64 v[96:97], v[22:23], s[8:9], v[82:83]
	v_mul_f64 v[104:105], v[36:37], s[46:47]
	v_add_f64 v[78:79], v[84:85], v[78:79]
	v_fma_f64 v[108:109], v[6:7], s[8:9], -v[98:99]
	v_fma_f64 v[28:29], v[4:5], s[20:21], -v[28:29]
	v_add_f64 v[88:89], v[100:101], v[88:89]
	v_mul_f64 v[84:85], v[46:47], s[40:41]
	v_fma_f64 v[106:107], v[26:27], s[10:11], v[94:95]
	v_mul_f64 v[100:101], v[44:45], s[40:41]
	v_fma_f64 v[110:111], v[14:15], s[10:11], -v[104:105]
	v_add_f64 v[78:79], v[96:97], v[78:79]
	v_fma_f64 v[56:57], v[12:13], s[28:29], -v[56:57]
	v_add_f64 v[28:29], v[206:207], v[28:29]
	v_add_f64 v[88:89], v[108:109], v[88:89]
	v_mul_f64 v[92:93], v[54:55], s[56:57]
	v_fma_f64 v[96:97], v[38:39], s[34:35], v[84:85]
	v_fma_f64 v[76:77], v[0:1], s[20:21], v[76:77]
	v_fma_f64 v[108:109], v[20:21], s[34:35], -v[100:101]
	v_add_f64 v[78:79], v[106:107], v[78:79]
	v_mul_f64 v[106:107], v[52:53], s[56:57]
	v_add_f64 v[28:29], v[56:57], v[28:29]
	v_add_f64 v[56:57], v[110:111], v[88:89]
	v_mul_f64 v[80:81], v[66:67], s[38:39]
	v_fma_f64 v[102:103], v[48:49], s[18:19], v[92:93]
	v_fma_f64 v[82:83], v[22:23], s[8:9], -v[82:83]
	v_fma_f64 v[86:87], v[2:3], s[28:29], v[86:87]
	v_add_f64 v[76:77], v[204:205], v[76:77]
	v_add_f64 v[78:79], v[96:97], v[78:79]
	v_mul_f64 v[88:89], v[62:63], s[38:39]
	v_fma_f64 v[96:97], v[32:33], s[18:19], -v[106:107]
	v_add_f64 v[56:57], v[108:109], v[56:57]
	v_fma_f64 v[74:75], v[50:51], s[10:11], v[90:91]
	v_add_f64 v[30:31], v[58:59], v[30:31]
	v_mul_f64 v[58:59], v[70:71], s[30:31]
	v_fma_f64 v[90:91], v[60:61], s[2:3], v[80:81]
	v_fma_f64 v[94:95], v[26:27], s[10:11], -v[94:95]
	v_add_f64 v[76:77], v[86:87], v[76:77]
	v_add_f64 v[28:29], v[82:83], v[28:29]
	;; [unrolled: 1-line block ×3, first 2 shown]
	v_mul_f64 v[82:83], v[68:69], s[30:31]
	v_fma_f64 v[86:87], v[42:43], s[2:3], -v[88:89]
	v_add_f64 v[56:57], v[96:97], v[56:57]
	v_fma_f64 v[98:99], v[6:7], s[8:9], v[98:99]
	v_fma_f64 v[84:85], v[38:39], s[34:35], -v[84:85]
	v_fma_f64 v[102:103], v[14:15], s[10:11], v[104:105]
	v_add_f64 v[28:29], v[94:95], v[28:29]
	v_fma_f64 v[94:95], v[64:65], s[26:27], v[58:59]
	v_add_f64 v[78:79], v[90:91], v[78:79]
	v_fma_f64 v[90:91], v[50:51], s[26:27], -v[82:83]
	v_add_f64 v[56:57], v[86:87], v[56:57]
	v_add_f64 v[76:77], v[98:99], v[76:77]
	;; [unrolled: 1-line block ×3, first 2 shown]
	v_fma_f64 v[92:93], v[48:49], s[18:19], -v[92:93]
	v_add_f64 v[28:29], v[84:85], v[28:29]
	v_fma_f64 v[96:97], v[20:21], s[34:35], v[100:101]
	v_add_f64 v[86:87], v[94:95], v[78:79]
	v_fma_f64 v[30:31], v[60:61], s[2:3], -v[80:81]
	v_add_f64 v[84:85], v[90:91], v[56:57]
	v_add_f64 v[76:77], v[102:103], v[76:77]
	v_mul_f64 v[74:75], v[8:9], s[24:25]
	v_mul_f64 v[80:81], v[10:11], s[24:25]
	buffer_store_dword v110, off, s[60:63], 0 offset:848 ; 4-byte Folded Spill
	s_nop 0
	buffer_store_dword v111, off, s[60:63], 0 offset:852 ; 4-byte Folded Spill
	buffer_store_dword v112, off, s[60:63], 0 offset:856 ; 4-byte Folded Spill
	;; [unrolled: 1-line block ×4, first 2 shown]
	s_nop 0
	buffer_store_dword v85, off, s[60:63], 0 offset:836 ; 4-byte Folded Spill
	buffer_store_dword v86, off, s[60:63], 0 offset:840 ; 4-byte Folded Spill
	buffer_store_dword v87, off, s[60:63], 0 offset:844 ; 4-byte Folded Spill
	v_fma_f64 v[78:79], v[32:33], s[18:19], v[106:107]
	v_add_f64 v[76:77], v[96:97], v[76:77]
	v_add_f64 v[28:29], v[92:93], v[28:29]
	v_mul_f64 v[56:57], v[18:19], s[40:41]
	v_fma_f64 v[84:85], v[4:5], s[18:19], v[74:75]
	v_fma_f64 v[86:87], v[42:43], s[2:3], v[88:89]
	v_mul_f64 v[88:89], v[16:17], s[40:41]
	v_fma_f64 v[90:91], v[0:1], s[18:19], -v[80:81]
	v_mul_f64 v[94:95], v[24:25], s[50:51]
	v_add_f64 v[76:77], v[78:79], v[76:77]
	v_add_f64 v[28:29], v[30:31], v[28:29]
	v_mul_f64 v[30:31], v[34:35], s[50:51]
	v_fma_f64 v[78:79], v[12:13], s[34:35], v[56:57]
	v_add_f64 v[84:85], v[206:207], v[84:85]
	v_fma_f64 v[96:97], v[2:3], s[34:35], -v[88:89]
	v_add_f64 v[90:91], v[204:205], v[90:91]
	v_mul_f64 v[102:103], v[36:37], s[48:49]
	v_add_f64 v[76:77], v[86:87], v[76:77]
	v_mul_f64 v[86:87], v[40:41], s[48:49]
	v_fma_f64 v[92:93], v[22:23], s[20:21], v[30:31]
	v_fma_f64 v[74:75], v[4:5], s[18:19], -v[74:75]
	v_add_f64 v[78:79], v[78:79], v[84:85]
	v_fma_f64 v[104:105], v[6:7], s[20:21], -v[94:95]
	v_add_f64 v[90:91], v[96:97], v[90:91]
	v_mul_f64 v[98:99], v[46:47], s[46:47]
	v_mul_f64 v[106:107], v[44:45], s[46:47]
	v_fma_f64 v[100:101], v[26:27], s[2:3], v[86:87]
	v_fma_f64 v[56:57], v[12:13], s[34:35], -v[56:57]
	v_add_f64 v[74:75], v[206:207], v[74:75]
	v_add_f64 v[78:79], v[92:93], v[78:79]
	v_fma_f64 v[108:109], v[14:15], s[2:3], -v[102:103]
	v_add_f64 v[90:91], v[104:105], v[90:91]
	v_mul_f64 v[92:93], v[54:55], s[42:43]
	v_fma_f64 v[96:97], v[38:39], s[10:11], v[98:99]
	v_mul_f64 v[110:111], v[52:53], s[42:43]
	v_fma_f64 v[30:31], v[22:23], s[20:21], -v[30:31]
	v_add_f64 v[56:57], v[56:57], v[74:75]
	v_add_f64 v[78:79], v[100:101], v[78:79]
	v_fma_f64 v[74:75], v[20:21], s[10:11], -v[106:107]
	v_add_f64 v[90:91], v[108:109], v[90:91]
	v_fma_f64 v[80:81], v[0:1], s[18:19], v[80:81]
	v_mul_f64 v[100:101], v[66:67], s[58:59]
	v_fma_f64 v[104:105], v[48:49], s[28:29], v[92:93]
	v_mul_f64 v[108:109], v[62:63], s[58:59]
	v_fma_f64 v[86:87], v[26:27], s[2:3], -v[86:87]
	v_add_f64 v[78:79], v[96:97], v[78:79]
	v_add_f64 v[30:31], v[30:31], v[56:57]
	v_fma_f64 v[56:57], v[32:33], s[28:29], -v[110:111]
	v_add_f64 v[74:75], v[74:75], v[90:91]
	v_fma_f64 v[88:89], v[2:3], s[34:35], v[88:89]
	v_add_f64 v[80:81], v[204:205], v[80:81]
	v_mul_f64 v[84:85], v[70:71], s[52:53]
	v_fma_f64 v[96:97], v[60:61], s[26:27], v[100:101]
	v_add_f64 v[78:79], v[104:105], v[78:79]
	v_mul_f64 v[90:91], v[68:69], s[52:53]
	v_fma_f64 v[98:99], v[38:39], s[10:11], -v[98:99]
	v_add_f64 v[30:31], v[86:87], v[30:31]
	v_fma_f64 v[86:87], v[42:43], s[26:27], -v[108:109]
	v_add_f64 v[56:57], v[56:57], v[74:75]
	v_fma_f64 v[94:95], v[6:7], s[20:21], v[94:95]
	v_add_f64 v[80:81], v[88:89], v[80:81]
	v_fma_f64 v[58:59], v[64:65], s[26:27], -v[58:59]
	v_fma_f64 v[82:83], v[50:51], s[26:27], v[82:83]
	v_fma_f64 v[74:75], v[64:65], s[8:9], v[84:85]
	v_add_f64 v[78:79], v[96:97], v[78:79]
	v_fma_f64 v[88:89], v[48:49], s[28:29], -v[92:93]
	v_add_f64 v[30:31], v[98:99], v[30:31]
	v_fma_f64 v[92:93], v[50:51], s[8:9], -v[90:91]
	v_add_f64 v[86:87], v[86:87], v[56:57]
	v_fma_f64 v[96:97], v[14:15], s[2:3], v[102:103]
	v_add_f64 v[80:81], v[94:95], v[80:81]
	v_add_f64 v[58:59], v[58:59], v[28:29]
	;; [unrolled: 1-line block ×3, first 2 shown]
	s_mov_b32 s57, 0x3fc7851a
	v_add_f64 v[82:83], v[88:89], v[30:31]
	v_add_f64 v[30:31], v[74:75], v[78:79]
	;; [unrolled: 1-line block ×3, first 2 shown]
	v_fma_f64 v[74:75], v[20:21], s[10:11], v[106:107]
	v_mul_f64 v[78:79], v[8:9], s[46:47]
	v_add_f64 v[80:81], v[96:97], v[80:81]
	v_mul_f64 v[86:87], v[10:11], s[46:47]
	v_mul_f64 v[92:93], v[18:19], s[30:31]
	s_mov_b32 s56, s40
	v_fma_f64 v[76:77], v[60:61], s[26:27], -v[100:101]
	v_fma_f64 v[88:89], v[32:33], s[28:29], v[110:111]
	v_mul_f64 v[98:99], v[34:35], s[56:57]
	v_fma_f64 v[94:95], v[4:5], s[10:11], v[78:79]
	v_add_f64 v[74:75], v[74:75], v[80:81]
	v_mul_f64 v[80:81], v[16:17], s[30:31]
	v_fma_f64 v[96:97], v[0:1], s[10:11], -v[86:87]
	v_fma_f64 v[100:101], v[12:13], s[26:27], v[92:93]
	v_mul_f64 v[102:103], v[24:25], s[56:57]
	v_fma_f64 v[84:85], v[64:65], s[8:9], -v[84:85]
	v_add_f64 v[76:77], v[76:77], v[82:83]
	v_add_f64 v[94:95], v[206:207], v[94:95]
	v_fma_f64 v[82:83], v[42:43], s[26:27], v[108:109]
	v_fma_f64 v[104:105], v[2:3], s[26:27], -v[80:81]
	v_add_f64 v[96:97], v[204:205], v[96:97]
	v_add_f64 v[74:75], v[88:89], v[74:75]
	v_fma_f64 v[88:89], v[50:51], s[8:9], v[90:91]
	v_mul_f64 v[90:91], v[40:41], s[50:51]
	v_fma_f64 v[106:107], v[22:23], s[34:35], v[98:99]
	v_add_f64 v[94:95], v[100:101], v[94:95]
	v_mul_f64 v[100:101], v[36:37], s[50:51]
	v_fma_f64 v[108:109], v[6:7], s[34:35], -v[102:103]
	v_add_f64 v[96:97], v[104:105], v[96:97]
	v_add_f64 v[74:75], v[82:83], v[74:75]
	;; [unrolled: 1-line block ×3, first 2 shown]
	v_mul_f64 v[82:83], v[46:47], s[52:53]
	v_fma_f64 v[84:85], v[26:27], s[20:21], v[90:91]
	v_add_f64 v[94:95], v[106:107], v[94:95]
	v_mul_f64 v[104:105], v[44:45], s[52:53]
	v_fma_f64 v[106:107], v[14:15], s[20:21], -v[100:101]
	v_add_f64 v[96:97], v[108:109], v[96:97]
	v_fma_f64 v[78:79], v[4:5], s[10:11], -v[78:79]
	v_fma_f64 v[86:87], v[0:1], s[10:11], v[86:87]
	v_fma_f64 v[108:109], v[38:39], s[8:9], v[82:83]
	v_fma_f64 v[92:93], v[12:13], s[26:27], -v[92:93]
	v_add_f64 v[84:85], v[84:85], v[94:95]
	v_fma_f64 v[110:111], v[20:21], s[8:9], -v[104:105]
	v_fma_f64 v[80:81], v[2:3], s[26:27], v[80:81]
	v_add_f64 v[96:97], v[106:107], v[96:97]
	v_mul_f64 v[106:107], v[52:53], s[38:39]
	v_add_f64 v[78:79], v[206:207], v[78:79]
	v_add_f64 v[86:87], v[204:205], v[86:87]
	;; [unrolled: 1-line block ×4, first 2 shown]
	v_mul_f64 v[108:109], v[62:63], s[24:25]
	v_mul_f64 v[88:89], v[54:55], s[38:39]
	v_add_f64 v[96:97], v[110:111], v[96:97]
	v_fma_f64 v[110:111], v[32:33], s[2:3], -v[106:107]
	v_fma_f64 v[98:99], v[22:23], s[34:35], -v[98:99]
	v_add_f64 v[78:79], v[92:93], v[78:79]
	v_add_f64 v[80:81], v[80:81], v[86:87]
	v_mul_f64 v[86:87], v[68:69], s[42:43]
	v_fma_f64 v[102:103], v[6:7], s[34:35], v[102:103]
	v_mul_f64 v[94:95], v[66:67], s[24:25]
	v_fma_f64 v[112:113], v[48:49], s[2:3], v[88:89]
	v_add_f64 v[96:97], v[110:111], v[96:97]
	v_fma_f64 v[110:111], v[42:43], s[18:19], -v[108:109]
	v_add_f64 v[78:79], v[98:99], v[78:79]
	v_fma_f64 v[90:91], v[26:27], s[20:21], -v[90:91]
	v_fma_f64 v[100:101], v[14:15], s[20:21], v[100:101]
	v_add_f64 v[102:103], v[102:103], v[80:81]
	v_mul_f64 v[92:93], v[70:71], s[42:43]
	v_add_f64 v[84:85], v[112:113], v[84:85]
	v_fma_f64 v[112:113], v[60:61], s[18:19], v[94:95]
	v_add_f64 v[96:97], v[110:111], v[96:97]
	v_fma_f64 v[110:111], v[50:51], s[28:29], -v[86:87]
	v_add_f64 v[90:91], v[90:91], v[78:79]
	v_fma_f64 v[82:83], v[38:39], s[8:9], -v[82:83]
	v_add_f64 v[100:101], v[100:101], v[102:103]
	v_mul_f64 v[114:115], v[8:9], s[38:39]
	v_fma_f64 v[88:89], v[48:49], s[2:3], -v[88:89]
	v_add_f64 v[84:85], v[112:113], v[84:85]
	v_fma_f64 v[112:113], v[64:65], s[28:29], v[92:93]
	v_add_f64 v[78:79], v[110:111], v[96:97]
	v_fma_f64 v[96:97], v[20:21], s[8:9], v[104:105]
	v_add_f64 v[82:83], v[82:83], v[90:91]
	v_add_f64 v[90:91], v[206:207], v[218:219]
	v_mul_f64 v[8:9], v[8:9], s[16:17]
	v_mul_f64 v[104:105], v[34:35], s[46:47]
	;; [unrolled: 1-line block ×3, first 2 shown]
	v_add_f64 v[80:81], v[112:113], v[84:85]
	v_mul_f64 v[84:85], v[18:19], s[16:17]
	v_add_f64 v[96:97], v[96:97], v[100:101]
	v_fma_f64 v[100:101], v[32:33], s[2:3], v[106:107]
	v_add_f64 v[90:91], v[214:215], v[90:91]
	v_add_f64 v[82:83], v[88:89], v[82:83]
	v_mul_f64 v[18:19], v[18:19], s[24:25]
	v_fma_f64 v[94:95], v[60:61], s[18:19], -v[94:95]
	v_mul_f64 v[10:11], v[10:11], s[16:17]
	v_fma_f64 v[92:93], v[64:65], s[28:29], -v[92:93]
	v_mul_f64 v[16:17], v[16:17], s[24:25]
	v_add_f64 v[88:89], v[100:101], v[96:97]
	v_fma_f64 v[96:97], v[4:5], s[8:9], v[8:9]
	v_add_f64 v[90:91], v[210:211], v[90:91]
	v_fma_f64 v[210:211], v[12:13], s[18:19], v[18:19]
	v_add_f64 v[82:83], v[94:95], v[82:83]
	v_fma_f64 v[4:5], v[4:5], s[8:9], -v[8:9]
	v_mul_f64 v[24:25], v[24:25], s[30:31]
	v_add_f64 v[110:111], v[204:205], v[216:217]
	v_fma_f64 v[12:13], v[12:13], s[18:19], -v[18:19]
	v_add_f64 v[96:97], v[206:207], v[96:97]
	v_mul_f64 v[36:37], v[36:37], s[40:41]
	v_mul_f64 v[106:107], v[40:41], s[24:25]
	;; [unrolled: 1-line block ×3, first 2 shown]
	v_add_f64 v[214:215], v[206:207], v[4:5]
	v_add_f64 v[4:5], v[92:93], v[82:83]
	v_fma_f64 v[82:83], v[50:51], s[28:29], v[86:87]
	v_fma_f64 v[86:87], v[2:3], s[18:19], -v[16:17]
	v_add_f64 v[96:97], v[210:211], v[96:97]
	v_fma_f64 v[210:211], v[22:23], s[26:27], v[34:35]
	v_add_f64 v[110:111], v[212:213], v[110:111]
	v_mul_f64 v[212:213], v[46:47], s[36:37]
	v_add_f64 v[12:13], v[12:13], v[214:215]
	v_mul_f64 v[46:47], v[46:47], s[54:55]
	v_mul_f64 v[44:45], v[44:45], s[54:55]
	v_fma_f64 v[214:215], v[14:15], s[34:35], -v[36:37]
	v_fma_f64 v[22:23], v[22:23], s[26:27], -v[34:35]
	v_add_f64 v[96:97], v[210:211], v[96:97]
	v_fma_f64 v[210:211], v[0:1], s[8:9], -v[10:11]
	v_add_f64 v[110:111], v[208:209], v[110:111]
	v_mul_f64 v[208:209], v[54:55], s[30:31]
	v_fma_f64 v[34:35], v[26:27], s[34:35], v[40:41]
	v_mul_f64 v[54:55], v[54:55], s[50:51]
	v_fma_f64 v[26:27], v[26:27], s[34:35], -v[40:41]
	v_fma_f64 v[40:41], v[38:39], s[28:29], v[46:47]
	v_fma_f64 v[38:39], v[38:39], s[28:29], -v[46:47]
	v_add_f64 v[92:93], v[204:205], v[210:211]
	v_mul_f64 v[46:47], v[52:53], s[50:51]
	v_fma_f64 v[52:53], v[20:21], s[28:29], -v[44:45]
	v_fma_f64 v[108:109], v[42:43], s[18:19], v[108:109]
	v_fma_f64 v[210:211], v[48:49], s[20:21], v[54:55]
	v_fma_f64 v[48:49], v[48:49], s[20:21], -v[54:55]
	v_add_f64 v[34:35], v[34:35], v[96:97]
	v_add_f64 v[12:13], v[22:23], v[12:13]
	v_add_f64 v[86:87], v[86:87], v[92:93]
	v_fma_f64 v[92:93], v[6:7], s[26:27], -v[24:25]
	v_fma_f64 v[54:55], v[32:33], s[20:21], -v[46:47]
	v_add_f64 v[110:111], v[228:229], v[110:111]
	v_add_f64 v[88:89], v[108:109], v[88:89]
	v_mul_f64 v[108:109], v[66:67], s[42:43]
	v_mul_f64 v[66:67], v[66:67], s[44:45]
	v_add_f64 v[34:35], v[40:41], v[34:35]
	v_add_f64 v[12:13], v[26:27], v[12:13]
	;; [unrolled: 1-line block ×3, first 2 shown]
	v_mul_f64 v[98:99], v[0:1], s[2:3]
	v_add_f64 v[40:41], v[232:233], v[110:111]
	v_mul_f64 v[116:117], v[2:3], s[8:9]
	v_fma_f64 v[0:1], v[0:1], s[8:9], v[10:11]
	v_fma_f64 v[22:23], v[60:61], s[10:11], v[66:67]
	v_add_f64 v[34:35], v[210:211], v[34:35]
	v_add_f64 v[12:13], v[38:39], v[12:13]
	;; [unrolled: 1-line block ×3, first 2 shown]
	v_fma_f64 v[2:3], v[2:3], s[18:19], v[16:17]
	v_add_f64 v[38:39], v[220:221], v[40:41]
	v_mul_f64 v[102:103], v[6:7], s[10:11]
	v_fma_f64 v[6:7], v[6:7], s[26:27], v[24:25]
	v_add_f64 v[0:1], v[204:205], v[0:1]
	v_add_f64 v[22:23], v[22:23], v[34:35]
	v_fma_f64 v[34:35], v[60:61], s[10:11], -v[66:67]
	v_add_f64 v[52:53], v[52:53], v[86:87]
	v_add_f64 v[12:13], v[48:49], v[12:13]
	;; [unrolled: 1-line block ×3, first 2 shown]
	v_mul_f64 v[112:113], v[14:15], s[18:19]
	v_mov_b32_e32 v216, v118
	v_add_f64 v[0:1], v[2:3], v[0:1]
	v_fma_f64 v[2:3], v[14:15], s[34:35], v[36:37]
	v_mov_b32_e32 v217, v119
	v_add_f64 v[52:53], v[54:55], v[52:53]
	buffer_load_dword v54, off, s[60:63], 0 offset:696 ; 4-byte Folded Reload
	buffer_load_dword v55, off, s[60:63], 0 offset:700 ; 4-byte Folded Reload
	v_add_f64 v[12:13], v[34:35], v[12:13]
	v_add_f64 v[34:35], v[240:241], v[38:39]
	buffer_load_dword v38, off, s[60:63], 0 offset:664 ; 4-byte Folded Reload
	buffer_load_dword v39, off, s[60:63], 0 offset:668 ; 4-byte Folded Reload
	;; [unrolled: 1-line block ×4, first 2 shown]
	v_mul_f64 v[118:119], v[20:21], s[20:21]
	v_add_f64 v[0:1], v[6:7], v[0:1]
	v_fma_f64 v[6:7], v[20:21], s[28:29], v[44:45]
	v_mul_f64 v[100:101], v[32:33], s[26:27]
	v_mul_f64 v[40:41], v[62:63], s[44:45]
	v_add_f64 v[34:35], v[248:249], v[34:35]
	v_add_f64 v[90:91], v[230:231], v[90:91]
	v_mul_f64 v[18:19], v[70:71], s[48:49]
	v_mul_f64 v[70:71], v[70:71], s[40:41]
	v_add_f64 v[0:1], v[2:3], v[0:1]
	v_fma_f64 v[2:3], v[32:33], s[20:21], v[46:47]
	v_mul_f64 v[48:49], v[68:69], s[48:49]
	v_mul_f64 v[94:95], v[42:43], s[28:29]
	v_add_f64 v[34:35], v[244:245], v[34:35]
	v_add_f64 v[26:27], v[234:235], v[90:91]
	v_mul_f64 v[8:9], v[50:51], s[34:35]
	v_fma_f64 v[96:97], v[64:65], s[2:3], v[18:19]
	v_add_f64 v[0:1], v[6:7], v[0:1]
	v_fma_f64 v[6:7], v[42:43], s[10:11], v[40:41]
	v_fma_f64 v[18:19], v[64:65], s[2:3], -v[18:19]
	v_fma_f64 v[60:61], v[42:43], s[10:11], -v[40:41]
	v_add_f64 v[34:35], v[252:253], v[34:35]
	v_add_f64 v[26:27], v[222:223], v[26:27]
	v_add_f64 v[0:1], v[2:3], v[0:1]
	v_fma_f64 v[2:3], v[50:51], s[2:3], v[48:49]
	v_add_f64 v[36:37], v[60:61], v[52:53]
	v_add_f64 v[34:35], v[148:149], v[34:35]
	;; [unrolled: 1-line block ×13, first 2 shown]
	s_waitcnt vmcnt(4)
	v_add_f64 v[54:55], v[54:55], -v[114:115]
	s_waitcnt vmcnt(2)
	v_add_f64 v[38:39], v[98:99], v[38:39]
	s_waitcnt vmcnt(0)
	v_add_f64 v[10:11], v[10:11], -v[84:85]
	v_add_f64 v[26:27], v[174:175], v[26:27]
	v_add_f64 v[16:17], v[206:207], v[54:55]
	buffer_load_dword v54, off, s[60:63], 0 offset:672 ; 4-byte Folded Reload
	buffer_load_dword v55, off, s[60:63], 0 offset:676 ; 4-byte Folded Reload
	v_add_f64 v[38:39], v[204:205], v[38:39]
	v_add_f64 v[26:27], v[154:155], v[26:27]
	;; [unrolled: 1-line block ×3, first 2 shown]
	s_waitcnt vmcnt(0)
	v_add_f64 v[54:55], v[116:117], v[54:55]
	buffer_load_dword v114, off, s[60:63], 0 offset:768 ; 4-byte Folded Reload
	buffer_load_dword v115, off, s[60:63], 0 offset:772 ; 4-byte Folded Reload
	;; [unrolled: 1-line block ×8, first 2 shown]
	v_add_f64 v[38:39], v[54:55], v[38:39]
	s_waitcnt vmcnt(2)
	v_add_f64 v[24:25], v[24:25], -v[104:105]
	s_waitcnt vmcnt(0)
	v_add_f64 v[16:17], v[102:103], v[16:17]
	buffer_load_dword v102, off, s[60:63], 0 offset:616 ; 4-byte Folded Reload
	buffer_load_dword v103, off, s[60:63], 0 offset:620 ; 4-byte Folded Reload
	;; [unrolled: 1-line block ×6, first 2 shown]
	v_add_f64 v[10:11], v[24:25], v[10:11]
	buffer_load_dword v24, off, s[60:63], 0 offset:720 ; 4-byte Folded Reload
	buffer_load_dword v25, off, s[60:63], 0 offset:724 ; 4-byte Folded Reload
	v_add_f64 v[16:17], v[16:17], v[38:39]
	s_waitcnt vmcnt(2)
	v_add_f64 v[14:15], v[14:15], -v[106:107]
	s_waitcnt vmcnt(0)
	v_add_f64 v[24:25], v[112:113], v[24:25]
	buffer_load_dword v110, off, s[60:63], 0 offset:648 ; 4-byte Folded Reload
	buffer_load_dword v111, off, s[60:63], 0 offset:652 ; 4-byte Folded Reload
	;; [unrolled: 1-line block ×6, first 2 shown]
	v_add_f64 v[10:11], v[14:15], v[10:11]
	buffer_load_dword v14, off, s[60:63], 0 offset:704 ; 4-byte Folded Reload
	buffer_load_dword v15, off, s[60:63], 0 offset:708 ; 4-byte Folded Reload
	v_add_f64 v[16:17], v[24:25], v[16:17]
	buffer_load_dword v24, off, s[60:63], 0 offset:544 ; 4-byte Folded Reload
	buffer_load_dword v25, off, s[60:63], 0 offset:548 ; 4-byte Folded Reload
	s_waitcnt vmcnt(4)
	v_add_f64 v[20:21], v[20:21], -v[212:213]
	s_waitcnt vmcnt(2)
	v_add_f64 v[14:15], v[118:119], v[14:15]
	v_mov_b32_e32 v119, v217
	v_mov_b32_e32 v118, v216
	s_waitcnt vmcnt(0)
	v_add_f64 v[24:25], v[24:25], -v[208:209]
	v_add_f64 v[10:11], v[20:21], v[10:11]
	buffer_load_dword v20, off, s[60:63], 0 offset:688 ; 4-byte Folded Reload
	buffer_load_dword v21, off, s[60:63], 0 offset:692 ; 4-byte Folded Reload
	v_add_f64 v[14:15], v[14:15], v[16:17]
	v_add_f64 v[10:11], v[24:25], v[10:11]
	s_waitcnt vmcnt(0)
	v_add_f64 v[20:21], v[100:101], v[20:21]
	buffer_load_dword v98, off, s[60:63], 0 offset:600 ; 4-byte Folded Reload
	buffer_load_dword v99, off, s[60:63], 0 offset:604 ; 4-byte Folded Reload
	;; [unrolled: 1-line block ×6, first 2 shown]
	v_add_f64 v[14:15], v[20:21], v[14:15]
	s_waitcnt vmcnt(0)
	v_add_f64 v[16:17], v[16:17], -v[108:109]
	buffer_load_dword v106, off, s[60:63], 0 offset:632 ; 4-byte Folded Reload
	buffer_load_dword v107, off, s[60:63], 0 offset:636 ; 4-byte Folded Reload
	;; [unrolled: 1-line block ×8, first 2 shown]
	v_add_f64 v[10:11], v[16:17], v[10:11]
	buffer_load_dword v16, off, s[60:63], 0 offset:568 ; 4-byte Folded Reload
	buffer_load_dword v17, off, s[60:63], 0 offset:572 ; 4-byte Folded Reload
	s_waitcnt vmcnt(4)
	v_add_f64 v[24:25], v[94:95], v[24:25]
	s_waitcnt vmcnt(2)
	v_add_f64 v[20:21], v[20:21], -v[70:71]
	s_waitcnt vmcnt(0)
	v_add_f64 v[34:35], v[8:9], v[16:17]
	v_add_f64 v[8:9], v[18:19], v[12:13]
	;; [unrolled: 1-line block ×4, first 2 shown]
	buffer_load_dword v94, off, s[60:63], 0 offset:584 ; 4-byte Folded Reload
	buffer_load_dword v95, off, s[60:63], 0 offset:588 ; 4-byte Folded Reload
	;; [unrolled: 1-line block ×5, first 2 shown]
	v_add_f64 v[16:17], v[170:171], v[26:27]
	v_add_f64 v[26:27], v[168:169], v[32:33]
	;; [unrolled: 1-line block ×3, first 2 shown]
	v_fma_f64 v[32:33], v[50:51], s[2:3], -v[48:49]
	v_add_f64 v[16:17], v[202:203], v[16:17]
	v_add_f64 v[14:15], v[200:201], v[26:27]
	;; [unrolled: 1-line block ×4, first 2 shown]
	s_waitcnt vmcnt(0)
	v_mul_lo_u16_e32 v0, 17, v0
	v_lshlrev_b32_e32 v0, 4, v0
	ds_write_b128 v0, v[14:17]
	ds_write_b128 v0, v[10:13] offset:16
	ds_write_b128 v0, v[6:9] offset:32
	;; [unrolled: 1-line block ×5, first 2 shown]
	buffer_load_dword v1, off, s[60:63], 0 offset:848 ; 4-byte Folded Reload
	buffer_load_dword v2, off, s[60:63], 0 offset:852 ; 4-byte Folded Reload
	buffer_load_dword v3, off, s[60:63], 0 offset:856 ; 4-byte Folded Reload
	buffer_load_dword v4, off, s[60:63], 0 offset:860 ; 4-byte Folded Reload
	s_waitcnt vmcnt(0)
	ds_write_b128 v0, v[1:4] offset:96
	buffer_load_dword v1, off, s[60:63], 0 offset:816 ; 4-byte Folded Reload
	buffer_load_dword v2, off, s[60:63], 0 offset:820 ; 4-byte Folded Reload
	buffer_load_dword v3, off, s[60:63], 0 offset:824 ; 4-byte Folded Reload
	buffer_load_dword v4, off, s[60:63], 0 offset:828 ; 4-byte Folded Reload
	s_waitcnt vmcnt(0)
	ds_write_b128 v0, v[1:4] offset:112
	;; [unrolled: 6-line block ×5, first 2 shown]
	ds_write_b128 v0, v[136:139] offset:176
	buffer_load_dword v1, off, s[60:63], 0 offset:832 ; 4-byte Folded Reload
	buffer_load_dword v2, off, s[60:63], 0 offset:836 ; 4-byte Folded Reload
	;; [unrolled: 1-line block ×4, first 2 shown]
	s_waitcnt vmcnt(0)
	ds_write_b128 v0, v[1:4] offset:192
	ds_write_b128 v0, v[28:31] offset:208
	;; [unrolled: 1-line block ×5, first 2 shown]
.LBB0_17:
	s_or_b64 exec, exec, s[22:23]
	s_waitcnt lgkmcnt(0)
	s_barrier
	ds_read_b128 v[0:3], v73
	ds_read_b128 v[4:7], v73 offset:15232
	ds_read_b128 v[8:11], v73 offset:1904
	;; [unrolled: 1-line block ×15, first 2 shown]
	buffer_load_dword v66, off, s[60:63], 0 offset:92 ; 4-byte Folded Reload
	buffer_load_dword v67, off, s[60:63], 0 offset:96 ; 4-byte Folded Reload
	;; [unrolled: 1-line block ×4, first 2 shown]
	s_waitcnt vmcnt(0) lgkmcnt(14)
	v_mul_f64 v[64:65], v[68:69], v[6:7]
	v_fma_f64 v[64:65], v[66:67], v[4:5], v[64:65]
	v_mul_f64 v[4:5], v[68:69], v[4:5]
	buffer_load_dword v68, off, s[60:63], 0 offset:76 ; 4-byte Folded Reload
	buffer_load_dword v69, off, s[60:63], 0 offset:80 ; 4-byte Folded Reload
	;; [unrolled: 1-line block ×8, first 2 shown]
	v_fma_f64 v[6:7], v[66:67], v[6:7], -v[4:5]
	v_add_f64 v[6:7], v[2:3], -v[6:7]
	v_fma_f64 v[2:3], v[2:3], 2.0, -v[6:7]
	s_waitcnt vmcnt(4) lgkmcnt(12)
	v_mul_f64 v[4:5], v[70:71], v[14:15]
	v_fma_f64 v[66:67], v[68:69], v[12:13], v[4:5]
	v_mul_f64 v[4:5], v[70:71], v[12:13]
	v_add_f64 v[12:13], v[8:9], -v[66:67]
	v_fma_f64 v[14:15], v[68:69], v[14:15], -v[4:5]
	s_waitcnt vmcnt(0) lgkmcnt(10)
	v_mul_f64 v[4:5], v[76:77], v[22:23]
	v_fma_f64 v[8:9], v[8:9], 2.0, -v[12:13]
	v_add_f64 v[14:15], v[10:11], -v[14:15]
	v_fma_f64 v[68:69], v[74:75], v[20:21], v[4:5]
	v_mul_f64 v[4:5], v[76:77], v[20:21]
	v_fma_f64 v[10:11], v[10:11], 2.0, -v[14:15]
	v_add_f64 v[20:21], v[16:17], -v[68:69]
	v_fma_f64 v[22:23], v[74:75], v[22:23], -v[4:5]
	buffer_load_dword v74, off, s[60:63], 0 offset:108 ; 4-byte Folded Reload
	buffer_load_dword v75, off, s[60:63], 0 offset:112 ; 4-byte Folded Reload
	;; [unrolled: 1-line block ×4, first 2 shown]
	v_fma_f64 v[16:17], v[16:17], 2.0, -v[20:21]
	v_add_f64 v[22:23], v[18:19], -v[22:23]
	v_fma_f64 v[18:19], v[18:19], 2.0, -v[22:23]
	s_waitcnt vmcnt(0) lgkmcnt(8)
	v_mul_f64 v[4:5], v[76:77], v[30:31]
	v_fma_f64 v[70:71], v[74:75], v[28:29], v[4:5]
	v_mul_f64 v[4:5], v[76:77], v[28:29]
	buffer_load_dword v76, off, s[60:63], 0 offset:156 ; 4-byte Folded Reload
	buffer_load_dword v77, off, s[60:63], 0 offset:160 ; 4-byte Folded Reload
	buffer_load_dword v78, off, s[60:63], 0 offset:164 ; 4-byte Folded Reload
	buffer_load_dword v79, off, s[60:63], 0 offset:168 ; 4-byte Folded Reload
	v_add_f64 v[28:29], v[24:25], -v[70:71]
	v_fma_f64 v[30:31], v[74:75], v[30:31], -v[4:5]
	v_fma_f64 v[24:25], v[24:25], 2.0, -v[28:29]
	v_add_f64 v[30:31], v[26:27], -v[30:31]
	v_fma_f64 v[26:27], v[26:27], 2.0, -v[30:31]
	s_waitcnt vmcnt(0) lgkmcnt(6)
	v_mul_f64 v[4:5], v[78:79], v[38:39]
	v_fma_f64 v[74:75], v[76:77], v[36:37], v[4:5]
	v_mul_f64 v[4:5], v[78:79], v[36:37]
	buffer_load_dword v78, off, s[60:63], 0 offset:140 ; 4-byte Folded Reload
	buffer_load_dword v79, off, s[60:63], 0 offset:144 ; 4-byte Folded Reload
	buffer_load_dword v80, off, s[60:63], 0 offset:148 ; 4-byte Folded Reload
	buffer_load_dword v81, off, s[60:63], 0 offset:152 ; 4-byte Folded Reload
	v_add_f64 v[36:37], v[32:33], -v[74:75]
	v_fma_f64 v[38:39], v[76:77], v[38:39], -v[4:5]
	;; [unrolled: 13-line block ×3, first 2 shown]
	v_fma_f64 v[40:41], v[40:41], 2.0, -v[44:45]
	v_add_f64 v[46:47], v[42:43], -v[46:47]
	v_fma_f64 v[42:43], v[42:43], 2.0, -v[46:47]
	s_waitcnt vmcnt(0) lgkmcnt(2)
	v_mul_f64 v[4:5], v[82:83], v[54:55]
	v_fma_f64 v[78:79], v[80:81], v[52:53], v[4:5]
	v_mul_f64 v[4:5], v[82:83], v[52:53]
	buffer_load_dword v82, off, s[60:63], 0 offset:172 ; 4-byte Folded Reload
	buffer_load_dword v83, off, s[60:63], 0 offset:176 ; 4-byte Folded Reload
	;; [unrolled: 1-line block ×4, first 2 shown]
	s_waitcnt vmcnt(0) lgkmcnt(0)
	s_barrier
	v_add_f64 v[52:53], v[48:49], -v[78:79]
	v_fma_f64 v[54:55], v[80:81], v[54:55], -v[4:5]
	v_fma_f64 v[48:49], v[48:49], 2.0, -v[52:53]
	v_add_f64 v[54:55], v[50:51], -v[54:55]
	v_fma_f64 v[50:51], v[50:51], 2.0, -v[54:55]
	v_mul_f64 v[4:5], v[84:85], v[62:63]
	v_fma_f64 v[80:81], v[82:83], v[60:61], v[4:5]
	v_mul_f64 v[4:5], v[84:85], v[60:61]
	v_add_f64 v[60:61], v[56:57], -v[80:81]
	v_fma_f64 v[62:63], v[82:83], v[62:63], -v[4:5]
	v_add_f64 v[4:5], v[0:1], -v[64:65]
	buffer_load_dword v64, off, s[60:63], 0 offset:188 ; 4-byte Folded Reload
	v_fma_f64 v[56:57], v[56:57], 2.0, -v[60:61]
	v_add_f64 v[62:63], v[58:59], -v[62:63]
	v_fma_f64 v[0:1], v[0:1], 2.0, -v[4:5]
	s_waitcnt vmcnt(0)
	ds_write_b128 v64, v[0:3]
	ds_write_b128 v64, v[4:7] offset:272
	buffer_load_dword v0, off, s[60:63], 0 offset:192 ; 4-byte Folded Reload
	v_fma_f64 v[58:59], v[58:59], 2.0, -v[62:63]
	s_waitcnt vmcnt(0)
	ds_write_b128 v0, v[8:11]
	ds_write_b128 v0, v[12:15] offset:272
	buffer_load_dword v0, off, s[60:63], 0 offset:196 ; 4-byte Folded Reload
	s_waitcnt vmcnt(0)
	ds_write_b128 v0, v[16:19]
	ds_write_b128 v0, v[20:23] offset:272
	buffer_load_dword v0, off, s[60:63], 0 offset:216 ; 4-byte Folded Reload
	;; [unrolled: 4-line block ×6, first 2 shown]
	s_waitcnt vmcnt(0)
	ds_write_b128 v0, v[56:59]
	ds_write_b128 v0, v[60:63] offset:272
	s_waitcnt lgkmcnt(0)
	s_barrier
	ds_read_b128 v[0:3], v73
	ds_read_b128 v[4:7], v73 offset:15232
	ds_read_b128 v[8:11], v73 offset:1904
	ds_read_b128 v[12:15], v73 offset:17136
	ds_read_b128 v[16:19], v73 offset:3808
	ds_read_b128 v[20:23], v73 offset:19040
	ds_read_b128 v[24:27], v73 offset:5712
	ds_read_b128 v[28:31], v73 offset:20944
	ds_read_b128 v[32:35], v73 offset:7616
	ds_read_b128 v[36:39], v73 offset:22848
	ds_read_b128 v[40:43], v73 offset:9520
	ds_read_b128 v[44:47], v73 offset:24752
	ds_read_b128 v[48:51], v73 offset:11424
	ds_read_b128 v[52:55], v73 offset:26656
	ds_read_b128 v[56:59], v73 offset:13328
	ds_read_b128 v[60:63], v73 offset:28560
	buffer_load_dword v66, off, s[60:63], 0 offset:268 ; 4-byte Folded Reload
	buffer_load_dword v67, off, s[60:63], 0 offset:272 ; 4-byte Folded Reload
	;; [unrolled: 1-line block ×4, first 2 shown]
	s_waitcnt vmcnt(0) lgkmcnt(14)
	v_mul_f64 v[64:65], v[68:69], v[6:7]
	v_fma_f64 v[64:65], v[66:67], v[4:5], v[64:65]
	v_mul_f64 v[4:5], v[68:69], v[4:5]
	v_fma_f64 v[4:5], v[66:67], v[6:7], -v[4:5]
	buffer_load_dword v66, off, s[60:63], 0 offset:236 ; 4-byte Folded Reload
	buffer_load_dword v67, off, s[60:63], 0 offset:240 ; 4-byte Folded Reload
	;; [unrolled: 1-line block ×8, first 2 shown]
	s_waitcnt vmcnt(4) lgkmcnt(12)
	v_mul_f64 v[6:7], v[68:69], v[14:15]
	v_fma_f64 v[6:7], v[66:67], v[12:13], v[6:7]
	v_mul_f64 v[12:13], v[68:69], v[12:13]
	v_fma_f64 v[66:67], v[66:67], v[14:15], -v[12:13]
	s_waitcnt vmcnt(0) lgkmcnt(10)
	v_mul_f64 v[12:13], v[76:77], v[22:23]
	v_add_f64 v[14:15], v[2:3], -v[4:5]
	v_fma_f64 v[68:69], v[74:75], v[20:21], v[12:13]
	v_mul_f64 v[12:13], v[76:77], v[20:21]
	v_fma_f64 v[70:71], v[74:75], v[22:23], -v[12:13]
	buffer_load_dword v20, off, s[60:63], 0 offset:252 ; 4-byte Folded Reload
	buffer_load_dword v21, off, s[60:63], 0 offset:256 ; 4-byte Folded Reload
	;; [unrolled: 1-line block ×4, first 2 shown]
	s_waitcnt vmcnt(0) lgkmcnt(8)
	v_mul_f64 v[12:13], v[22:23], v[30:31]
	v_fma_f64 v[74:75], v[20:21], v[28:29], v[12:13]
	v_mul_f64 v[12:13], v[22:23], v[28:29]
	v_add_f64 v[28:29], v[8:9], -v[6:7]
	v_fma_f64 v[76:77], v[20:21], v[30:31], -v[12:13]
	buffer_load_dword v20, off, s[60:63], 0 offset:316 ; 4-byte Folded Reload
	buffer_load_dword v21, off, s[60:63], 0 offset:320 ; 4-byte Folded Reload
	buffer_load_dword v22, off, s[60:63], 0 offset:324 ; 4-byte Folded Reload
	buffer_load_dword v23, off, s[60:63], 0 offset:328 ; 4-byte Folded Reload
	v_add_f64 v[30:31], v[10:11], -v[66:67]
	v_fma_f64 v[8:9], v[8:9], 2.0, -v[28:29]
	v_fma_f64 v[10:11], v[10:11], 2.0, -v[30:31]
	s_waitcnt vmcnt(0) lgkmcnt(6)
	v_mul_f64 v[12:13], v[22:23], v[38:39]
	v_fma_f64 v[78:79], v[20:21], v[36:37], v[12:13]
	v_mul_f64 v[12:13], v[22:23], v[36:37]
	v_add_f64 v[36:37], v[16:17], -v[68:69]
	v_fma_f64 v[80:81], v[20:21], v[38:39], -v[12:13]
	buffer_load_dword v20, off, s[60:63], 0 offset:300 ; 4-byte Folded Reload
	buffer_load_dword v21, off, s[60:63], 0 offset:304 ; 4-byte Folded Reload
	buffer_load_dword v22, off, s[60:63], 0 offset:308 ; 4-byte Folded Reload
	buffer_load_dword v23, off, s[60:63], 0 offset:312 ; 4-byte Folded Reload
	v_add_f64 v[38:39], v[18:19], -v[70:71]
	v_fma_f64 v[16:17], v[16:17], 2.0, -v[36:37]
	v_fma_f64 v[18:19], v[18:19], 2.0, -v[38:39]
	;; [unrolled: 13-line block ×3, first 2 shown]
	s_waitcnt vmcnt(0) lgkmcnt(2)
	v_mul_f64 v[12:13], v[22:23], v[54:55]
	v_fma_f64 v[86:87], v[20:21], v[52:53], v[12:13]
	v_mul_f64 v[12:13], v[22:23], v[52:53]
	v_add_f64 v[52:53], v[32:33], -v[78:79]
	v_fma_f64 v[88:89], v[20:21], v[54:55], -v[12:13]
	buffer_load_dword v20, off, s[60:63], 0 offset:332 ; 4-byte Folded Reload
	buffer_load_dword v21, off, s[60:63], 0 offset:336 ; 4-byte Folded Reload
	;; [unrolled: 1-line block ×4, first 2 shown]
	s_waitcnt vmcnt(0) lgkmcnt(0)
	s_barrier
	v_add_f64 v[54:55], v[34:35], -v[80:81]
	v_fma_f64 v[32:33], v[32:33], 2.0, -v[52:53]
	v_add_f64 v[66:67], v[50:51], -v[88:89]
	v_fma_f64 v[34:35], v[34:35], 2.0, -v[54:55]
	v_fma_f64 v[50:51], v[50:51], 2.0, -v[66:67]
	v_mul_f64 v[12:13], v[22:23], v[62:63]
	v_fma_f64 v[90:91], v[20:21], v[60:61], v[12:13]
	v_mul_f64 v[12:13], v[22:23], v[60:61]
	v_fma_f64 v[22:23], v[2:3], 2.0, -v[14:15]
	v_add_f64 v[60:61], v[40:41], -v[82:83]
	v_add_f64 v[4:5], v[56:57], -v[90:91]
	v_fma_f64 v[92:93], v[20:21], v[62:63], -v[12:13]
	v_add_f64 v[12:13], v[0:1], -v[64:65]
	v_add_f64 v[62:63], v[42:43], -v[84:85]
	v_fma_f64 v[40:41], v[40:41], 2.0, -v[60:61]
	v_add_f64 v[64:65], v[48:49], -v[86:87]
	v_add_f64 v[6:7], v[58:59], -v[92:93]
	v_fma_f64 v[20:21], v[0:1], 2.0, -v[12:13]
	v_fma_f64 v[0:1], v[56:57], 2.0, -v[4:5]
	buffer_load_dword v56, off, s[60:63], 0 offset:380 ; 4-byte Folded Reload
	v_fma_f64 v[42:43], v[42:43], 2.0, -v[62:63]
	v_fma_f64 v[48:49], v[48:49], 2.0, -v[64:65]
	s_waitcnt vmcnt(0)
	ds_write_b128 v56, v[20:23]
	ds_write_b128 v56, v[12:15] offset:544
	buffer_load_dword v12, off, s[60:63], 0 offset:384 ; 4-byte Folded Reload
	v_fma_f64 v[2:3], v[58:59], 2.0, -v[6:7]
	s_waitcnt vmcnt(0)
	ds_write_b128 v12, v[8:11]
	ds_write_b128 v12, v[28:31] offset:544
	buffer_load_dword v8, off, s[60:63], 0 offset:388 ; 4-byte Folded Reload
	s_waitcnt vmcnt(0)
	ds_write_b128 v8, v[16:19]
	ds_write_b128 v8, v[36:39] offset:544
	buffer_load_dword v8, off, s[60:63], 0 offset:408 ; 4-byte Folded Reload
	;; [unrolled: 4-line block ×6, first 2 shown]
	s_waitcnt vmcnt(0)
	ds_write_b128 v8, v[0:3]
	ds_write_b128 v8, v[4:7] offset:544
	s_waitcnt lgkmcnt(0)
	s_barrier
	ds_read_b128 v[16:19], v73
	ds_read_b128 v[60:63], v73 offset:4352
	ds_read_b128 v[56:59], v73 offset:8704
	;; [unrolled: 1-line block ×13, first 2 shown]
	s_and_saveexec_b64 s[2:3], s[0:1]
	s_cbranch_execz .LBB0_19
; %bb.18:
	ds_read_b128 v[0:3], v73 offset:3808
	ds_read_b128 v[4:7], v73 offset:8160
	ds_read_b128 v[224:227], v73 offset:12512
	ds_read_b128 v[64:67], v73 offset:16864
	s_waitcnt lgkmcnt(0)
	buffer_store_dword v64, off, s[60:63], 0 offset:12 ; 4-byte Folded Spill
	s_nop 0
	buffer_store_dword v65, off, s[60:63], 0 offset:16 ; 4-byte Folded Spill
	buffer_store_dword v66, off, s[60:63], 0 offset:20 ; 4-byte Folded Spill
	buffer_store_dword v67, off, s[60:63], 0 offset:24 ; 4-byte Folded Spill
	ds_read_b128 v[64:67], v73 offset:21216
	s_waitcnt lgkmcnt(0)
	buffer_store_dword v64, off, s[60:63], 0 offset:28 ; 4-byte Folded Spill
	s_nop 0
	buffer_store_dword v65, off, s[60:63], 0 offset:32 ; 4-byte Folded Spill
	buffer_store_dword v66, off, s[60:63], 0 offset:36 ; 4-byte Folded Spill
	buffer_store_dword v67, off, s[60:63], 0 offset:40 ; 4-byte Folded Spill
	ds_read_b128 v[64:67], v73 offset:25568
	;; [unrolled: 7-line block ×3, first 2 shown]
	s_waitcnt lgkmcnt(0)
	buffer_store_dword v64, off, s[60:63], 0 offset:60 ; 4-byte Folded Spill
	s_nop 0
	buffer_store_dword v65, off, s[60:63], 0 offset:64 ; 4-byte Folded Spill
	buffer_store_dword v66, off, s[60:63], 0 offset:68 ; 4-byte Folded Spill
	buffer_store_dword v67, off, s[60:63], 0 offset:72 ; 4-byte Folded Spill
.LBB0_19:
	s_or_b64 exec, exec, s[2:3]
	buffer_load_dword v86, off, s[60:63], 0 offset:460 ; 4-byte Folded Reload
	buffer_load_dword v87, off, s[60:63], 0 offset:464 ; 4-byte Folded Reload
	;; [unrolled: 1-line block ×12, first 2 shown]
	s_mov_b32 s16, 0x37e14327
	s_mov_b32 s8, 0x36b3c0b5
	;; [unrolled: 1-line block ×20, first 2 shown]
	s_waitcnt vmcnt(8) lgkmcnt(12)
	v_mul_f64 v[64:65], v[88:89], v[62:63]
	s_waitcnt vmcnt(4) lgkmcnt(11)
	v_mul_f64 v[68:69], v[84:85], v[58:59]
	v_mul_f64 v[70:71], v[84:85], v[56:57]
	;; [unrolled: 1-line block ×3, first 2 shown]
	s_waitcnt vmcnt(0) lgkmcnt(10)
	v_mul_f64 v[74:75], v[80:81], v[54:55]
	v_mul_f64 v[76:77], v[80:81], v[52:53]
	s_waitcnt lgkmcnt(5)
	v_mul_f64 v[80:81], v[134:135], v[48:49]
	v_fma_f64 v[60:61], v[86:87], v[60:61], v[64:65]
	v_fma_f64 v[56:57], v[82:83], v[56:57], v[68:69]
	v_fma_f64 v[58:59], v[82:83], v[58:59], -v[70:71]
	buffer_load_dword v82, off, s[60:63], 0 offset:364 ; 4-byte Folded Reload
	buffer_load_dword v83, off, s[60:63], 0 offset:368 ; 4-byte Folded Reload
	;; [unrolled: 1-line block ×4, first 2 shown]
	v_fma_f64 v[62:63], v[86:87], v[62:63], -v[66:67]
	buffer_load_dword v88, off, s[60:63], 0 offset:492 ; 4-byte Folded Reload
	buffer_load_dword v89, off, s[60:63], 0 offset:496 ; 4-byte Folded Reload
	buffer_load_dword v90, off, s[60:63], 0 offset:500 ; 4-byte Folded Reload
	buffer_load_dword v91, off, s[60:63], 0 offset:504 ; 4-byte Folded Reload
	v_fma_f64 v[52:53], v[78:79], v[52:53], v[74:75]
	v_fma_f64 v[54:55], v[78:79], v[54:55], -v[76:77]
	v_mul_f64 v[78:79], v[134:135], v[50:51]
	v_fma_f64 v[50:51], v[132:133], v[50:51], -v[80:81]
	s_waitcnt lgkmcnt(1)
	v_mul_f64 v[80:81], v[130:131], v[32:33]
	v_fma_f64 v[48:49], v[132:133], v[48:49], v[78:79]
	v_mul_f64 v[78:79], v[130:131], v[34:35]
	v_fma_f64 v[80:81], v[128:129], v[34:35], -v[80:81]
	v_fma_f64 v[78:79], v[128:129], v[32:33], v[78:79]
	s_waitcnt vmcnt(4)
	v_mul_f64 v[64:65], v[84:85], v[46:47]
	v_mul_f64 v[66:67], v[84:85], v[44:45]
	buffer_load_dword v84, off, s[60:63], 0 offset:476 ; 4-byte Folded Reload
	buffer_load_dword v85, off, s[60:63], 0 offset:480 ; 4-byte Folded Reload
	buffer_load_dword v86, off, s[60:63], 0 offset:484 ; 4-byte Folded Reload
	buffer_load_dword v87, off, s[60:63], 0 offset:488 ; 4-byte Folded Reload
	s_waitcnt vmcnt(4)
	v_mul_f64 v[68:69], v[90:91], v[42:43]
	v_mul_f64 v[70:71], v[90:91], v[40:41]
	v_fma_f64 v[44:45], v[82:83], v[44:45], v[64:65]
	v_fma_f64 v[46:47], v[82:83], v[46:47], -v[66:67]
	v_mul_f64 v[64:65], v[126:127], v[22:23]
	v_fma_f64 v[40:41], v[88:89], v[40:41], v[68:69]
	v_fma_f64 v[42:43], v[88:89], v[42:43], -v[70:71]
	v_mul_f64 v[68:69], v[122:123], v[26:27]
	v_mul_f64 v[70:71], v[122:123], v[24:25]
	;; [unrolled: 1-line block ×3, first 2 shown]
	v_fma_f64 v[64:65], v[124:125], v[20:21], v[64:65]
	v_add_f64 v[32:33], v[56:57], v[40:41]
	v_add_f64 v[34:35], v[58:59], v[42:43]
	v_fma_f64 v[68:69], v[120:121], v[24:25], v[68:69]
	v_fma_f64 v[70:71], v[120:121], v[26:27], -v[70:71]
	v_fma_f64 v[66:67], v[124:125], v[22:23], -v[66:67]
	s_waitcnt vmcnt(0)
	v_mul_f64 v[74:75], v[86:87], v[38:39]
	v_mul_f64 v[76:77], v[86:87], v[36:37]
	v_fma_f64 v[36:37], v[84:85], v[36:37], v[74:75]
	v_fma_f64 v[38:39], v[84:85], v[38:39], -v[76:77]
	buffer_load_dword v82, off, s[60:63], 0 offset:508 ; 4-byte Folded Reload
	buffer_load_dword v83, off, s[60:63], 0 offset:512 ; 4-byte Folded Reload
	;; [unrolled: 1-line block ×8, first 2 shown]
	s_waitcnt vmcnt(0) lgkmcnt(0)
	s_barrier
	v_add_f64 v[24:25], v[60:61], v[36:37]
	v_add_f64 v[26:27], v[62:63], v[38:39]
	v_mul_f64 v[74:75], v[84:85], v[30:31]
	v_mul_f64 v[76:77], v[84:85], v[28:29]
	;; [unrolled: 1-line block ×4, first 2 shown]
	v_fma_f64 v[74:75], v[82:83], v[28:29], v[74:75]
	v_fma_f64 v[76:77], v[82:83], v[30:31], -v[76:77]
	v_add_f64 v[28:29], v[60:61], -v[36:37]
	v_add_f64 v[30:31], v[62:63], -v[38:39]
	;; [unrolled: 1-line block ×4, first 2 shown]
	v_add_f64 v[40:41], v[52:53], v[44:45]
	v_add_f64 v[42:43], v[54:55], v[46:47]
	v_add_f64 v[44:45], v[44:45], -v[52:53]
	v_add_f64 v[46:47], v[46:47], -v[54:55]
	v_add_f64 v[52:53], v[32:33], v[24:25]
	v_add_f64 v[54:55], v[34:35], v[26:27]
	v_add_f64 v[56:57], v[32:33], -v[24:25]
	v_add_f64 v[58:59], v[34:35], -v[26:27]
	;; [unrolled: 1-line block ×6, first 2 shown]
	v_add_f64 v[60:61], v[44:45], v[36:37]
	v_add_f64 v[62:63], v[46:47], v[38:39]
	v_add_f64 v[82:83], v[44:45], -v[36:37]
	v_add_f64 v[84:85], v[46:47], -v[38:39]
	v_add_f64 v[40:41], v[40:41], v[52:53]
	v_add_f64 v[42:43], v[42:43], v[54:55]
	v_add_f64 v[36:37], v[36:37], -v[28:29]
	v_add_f64 v[38:39], v[38:39], -v[30:31]
	;; [unrolled: 1-line block ×4, first 2 shown]
	v_add_f64 v[28:29], v[60:61], v[28:29]
	v_add_f64 v[30:31], v[62:63], v[30:31]
	;; [unrolled: 1-line block ×4, first 2 shown]
	v_mul_f64 v[24:25], v[24:25], s[16:17]
	v_mul_f64 v[26:27], v[26:27], s[16:17]
	;; [unrolled: 1-line block ×8, first 2 shown]
	v_fma_f64 v[40:41], v[40:41], s[26:27], v[16:17]
	v_fma_f64 v[42:43], v[42:43], s[26:27], v[18:19]
	;; [unrolled: 1-line block ×4, first 2 shown]
	v_fma_f64 v[52:53], v[56:57], s[10:11], -v[52:53]
	v_fma_f64 v[54:55], v[58:59], s[10:11], -v[54:55]
	;; [unrolled: 1-line block ×4, first 2 shown]
	v_fma_f64 v[56:57], v[44:45], s[28:29], v[60:61]
	v_fma_f64 v[58:59], v[46:47], s[28:29], v[62:63]
	v_fma_f64 v[36:37], v[36:37], s[2:3], -v[60:61]
	v_fma_f64 v[38:39], v[38:39], s[2:3], -v[62:63]
	;; [unrolled: 1-line block ×4, first 2 shown]
	v_add_f64 v[60:61], v[32:33], v[40:41]
	v_add_f64 v[62:63], v[34:35], v[42:43]
	;; [unrolled: 1-line block ×5, first 2 shown]
	v_fma_f64 v[52:53], v[30:31], s[22:23], v[58:59]
	v_fma_f64 v[44:45], v[28:29], s[22:23], v[44:45]
	;; [unrolled: 1-line block ×6, first 2 shown]
	v_add_f64 v[40:41], v[24:25], v[40:41]
	v_fma_f64 v[54:55], v[28:29], s[22:23], v[56:57]
	v_fma_f64 v[56:57], v[86:87], v[14:15], -v[22:23]
	v_add_f64 v[22:23], v[42:43], -v[44:45]
	v_add_f64 v[58:59], v[70:71], v[76:77]
	v_add_f64 v[24:25], v[32:33], -v[30:31]
	v_add_f64 v[26:27], v[36:37], v[34:35]
	v_add_f64 v[28:29], v[30:31], v[32:33]
	v_add_f64 v[30:31], v[34:35], -v[36:37]
	v_add_f64 v[34:35], v[44:45], v[42:43]
	v_add_f64 v[36:37], v[48:49], v[38:39]
	;; [unrolled: 1-line block ×4, first 2 shown]
	v_add_f64 v[32:33], v[40:41], -v[46:47]
	v_add_f64 v[40:41], v[50:51], v[56:57]
	v_add_f64 v[38:39], v[48:49], -v[38:39]
	v_add_f64 v[42:43], v[50:51], -v[56:57]
	;; [unrolled: 1-line block ×3, first 2 shown]
	v_add_f64 v[56:57], v[68:69], v[74:75]
	v_add_f64 v[64:65], v[74:75], -v[68:69]
	v_add_f64 v[68:69], v[44:45], v[36:37]
	v_add_f64 v[46:47], v[66:67], v[80:81]
	v_add_f64 v[50:51], v[66:67], -v[80:81]
	v_add_f64 v[66:67], v[76:77], -v[70:71]
	;; [unrolled: 1-line block ×3, first 2 shown]
	v_add_f64 v[12:13], v[52:53], v[60:61]
	v_add_f64 v[36:37], v[36:37], -v[56:57]
	v_add_f64 v[44:45], v[56:57], -v[44:45]
	v_add_f64 v[78:79], v[64:65], v[48:49]
	v_add_f64 v[82:83], v[64:65], -v[48:49]
	v_add_f64 v[56:57], v[56:57], v[68:69]
	;; [unrolled: 2-line block ×3, first 2 shown]
	v_add_f64 v[76:77], v[46:47], -v[40:41]
	v_add_f64 v[40:41], v[40:41], -v[58:59]
	;; [unrolled: 1-line block ×3, first 2 shown]
	v_add_f64 v[80:81], v[66:67], v[50:51]
	v_add_f64 v[84:85], v[66:67], -v[50:51]
	v_add_f64 v[64:65], v[38:39], -v[64:65]
	v_add_f64 v[50:51], v[50:51], -v[42:43]
	v_add_f64 v[38:39], v[78:79], v[38:39]
	v_add_f64 v[8:9], v[8:9], v[56:57]
	v_mul_f64 v[36:37], v[36:37], s[16:17]
	v_mul_f64 v[68:69], v[44:45], s[8:9]
	;; [unrolled: 1-line block ×4, first 2 shown]
	v_add_f64 v[58:59], v[58:59], v[70:71]
	v_add_f64 v[66:67], v[42:43], -v[66:67]
	v_add_f64 v[42:43], v[80:81], v[42:43]
	v_mul_f64 v[40:41], v[40:41], s[16:17]
	v_mul_f64 v[70:71], v[46:47], s[8:9]
	;; [unrolled: 1-line block ×4, first 2 shown]
	v_fma_f64 v[56:57], v[56:57], s[26:27], v[8:9]
	v_fma_f64 v[44:45], v[44:45], s[8:9], v[36:37]
	v_fma_f64 v[68:69], v[74:75], s[10:11], -v[68:69]
	v_fma_f64 v[36:37], v[74:75], s[20:21], -v[36:37]
	v_fma_f64 v[74:75], v[64:65], s[28:29], v[78:79]
	v_fma_f64 v[48:49], v[48:49], s[2:3], -v[78:79]
	v_fma_f64 v[64:65], v[64:65], s[24:25], -v[82:83]
	v_add_f64 v[14:15], v[62:63], -v[54:55]
	v_fma_f64 v[46:47], v[46:47], s[8:9], v[40:41]
	v_fma_f64 v[70:71], v[76:77], s[10:11], -v[70:71]
	v_fma_f64 v[40:41], v[76:77], s[20:21], -v[40:41]
	v_fma_f64 v[76:77], v[66:67], s[28:29], v[80:81]
	v_fma_f64 v[66:67], v[66:67], s[24:25], -v[84:85]
	v_add_f64 v[78:79], v[44:45], v[56:57]
	v_add_f64 v[68:69], v[68:69], v[56:57]
	;; [unrolled: 1-line block ×3, first 2 shown]
	v_fma_f64 v[74:75], v[38:39], s[22:23], v[74:75]
	v_fma_f64 v[64:65], v[38:39], s[22:23], v[64:65]
	;; [unrolled: 1-line block ×3, first 2 shown]
	v_add_f64 v[36:37], v[60:61], -v[52:53]
	v_add_f64 v[38:39], v[54:55], v[62:63]
	ds_write_b128 v119, v[16:19]
	ds_write_b128 v119, v[12:15] offset:1088
	ds_write_b128 v119, v[20:23] offset:2176
	ds_write_b128 v119, v[24:27] offset:3264
	ds_write_b128 v119, v[28:31] offset:4352
	ds_write_b128 v119, v[32:35] offset:5440
	ds_write_b128 v119, v[36:39] offset:6528
	buffer_load_dword v12, off, s[60:63], 0 offset:524 ; 4-byte Folded Reload
	v_add_f64 v[10:11], v[10:11], v[58:59]
	v_fma_f64 v[50:51], v[50:51], s[2:3], -v[80:81]
	v_fma_f64 v[76:77], v[42:43], s[22:23], v[76:77]
	v_fma_f64 v[66:67], v[42:43], s[22:23], v[66:67]
	;; [unrolled: 1-line block ×4, first 2 shown]
	v_add_f64 v[60:61], v[78:79], -v[76:77]
	v_add_f64 v[44:45], v[66:67], v[56:57]
	v_add_f64 v[56:57], v[56:57], -v[66:67]
	v_add_f64 v[80:81], v[46:47], v[58:59]
	v_add_f64 v[70:71], v[70:71], v[58:59]
	;; [unrolled: 1-line block ×4, first 2 shown]
	v_add_f64 v[48:49], v[68:69], -v[82:83]
	v_add_f64 v[52:53], v[82:83], v[68:69]
	v_add_f64 v[42:43], v[80:81], -v[74:75]
	v_add_f64 v[50:51], v[84:85], v[70:71]
	v_add_f64 v[46:47], v[58:59], -v[64:65]
	v_add_f64 v[54:55], v[70:71], -v[84:85]
	v_add_f64 v[58:59], v[64:65], v[58:59]
	v_add_f64 v[62:63], v[74:75], v[80:81]
	s_waitcnt vmcnt(0)
	ds_write_b128 v12, v[8:11]
	ds_write_b128 v12, v[40:43] offset:1088
	ds_write_b128 v12, v[44:47] offset:2176
	;; [unrolled: 1-line block ×6, first 2 shown]
	s_mov_b64 s[30:31], exec
	buffer_load_dword v82, off, s[60:63], 0 offset:8 ; 4-byte Folded Reload
	s_and_b64 s[0:1], s[30:31], s[0:1]
	s_mov_b64 exec, s[0:1]
	s_cbranch_execz .LBB0_21
; %bb.20:
	buffer_load_dword v32, off, s[60:63], 0 offset:28 ; 4-byte Folded Reload
	buffer_load_dword v33, off, s[60:63], 0 offset:32 ; 4-byte Folded Reload
	;; [unrolled: 1-line block ×20, first 2 shown]
	v_mul_f64 v[18:19], v[108:109], v[4:5]
	v_mul_f64 v[22:23], v[104:105], v[224:225]
	;; [unrolled: 1-line block ×4, first 2 shown]
	v_fma_f64 v[6:7], v[106:107], v[6:7], -v[18:19]
	v_fma_f64 v[22:23], v[102:103], v[226:227], -v[22:23]
	v_fma_f64 v[4:5], v[106:107], v[4:5], v[12:13]
	v_fma_f64 v[24:25], v[102:103], v[224:225], v[24:25]
	s_waitcnt vmcnt(16)
	v_mul_f64 v[8:9], v[96:97], v[34:35]
	s_waitcnt vmcnt(12)
	v_mul_f64 v[10:11], v[100:101], v[30:31]
	s_waitcnt vmcnt(10)
	v_mul_f64 v[16:17], v[112:113], v[40:41]
	s_waitcnt vmcnt(0)
	v_mul_f64 v[20:21], v[46:47], v[36:37]
	v_mul_f64 v[14:15], v[112:113], v[42:43]
	v_mul_f64 v[26:27], v[46:47], v[38:39]
	;; [unrolled: 1-line block ×3, first 2 shown]
	v_fma_f64 v[8:9], v[94:95], v[32:33], v[8:9]
	v_fma_f64 v[10:11], v[98:99], v[28:29], v[10:11]
	v_fma_f64 v[16:17], v[110:111], v[42:43], -v[16:17]
	v_mul_f64 v[28:29], v[96:97], v[32:33]
	v_fma_f64 v[20:21], v[44:45], v[38:39], -v[20:21]
	v_fma_f64 v[26:27], v[44:45], v[36:37], v[26:27]
	v_fma_f64 v[12:13], v[110:111], v[40:41], v[14:15]
	v_fma_f64 v[14:15], v[98:99], v[30:31], -v[18:19]
	v_add_f64 v[32:33], v[8:9], -v[10:11]
	v_add_f64 v[8:9], v[10:11], v[8:9]
	v_fma_f64 v[18:19], v[94:95], v[34:35], -v[28:29]
	v_add_f64 v[28:29], v[6:7], v[16:17]
	v_add_f64 v[30:31], v[22:23], v[20:21]
	v_add_f64 v[34:35], v[24:25], -v[26:27]
	v_add_f64 v[40:41], v[4:5], -v[12:13]
	v_add_f64 v[4:5], v[4:5], v[12:13]
	v_add_f64 v[12:13], v[24:25], v[26:27]
	v_add_f64 v[16:17], v[6:7], -v[16:17]
	v_add_f64 v[36:37], v[14:15], v[18:19]
	v_add_f64 v[14:15], v[18:19], -v[14:15]
	;; [unrolled: 2-line block ×3, first 2 shown]
	v_add_f64 v[18:19], v[22:23], -v[20:21]
	v_add_f64 v[6:7], v[4:5], -v[8:9]
	v_add_f64 v[44:45], v[12:13], v[4:5]
	v_add_f64 v[20:21], v[34:35], -v[40:41]
	v_add_f64 v[24:25], v[28:29], -v[36:37]
	;; [unrolled: 1-line block ×3, first 2 shown]
	v_add_f64 v[26:27], v[36:37], v[38:39]
	v_add_f64 v[38:39], v[40:41], -v[32:33]
	v_mul_f64 v[42:43], v[42:43], s[18:19]
	v_add_f64 v[32:33], v[32:33], v[34:35]
	v_add_f64 v[22:23], v[14:15], -v[18:19]
	v_add_f64 v[48:49], v[18:19], -v[16:17]
	v_mul_f64 v[10:11], v[24:25], s[16:17]
	v_add_f64 v[24:25], v[36:37], -v[30:31]
	v_add_f64 v[2:3], v[2:3], v[26:27]
	v_add_f64 v[36:37], v[8:9], v[44:45]
	v_fma_f64 v[44:45], v[38:39], s[28:29], v[42:43]
	v_add_f64 v[32:33], v[32:33], v[40:41]
	v_add_f64 v[8:9], v[8:9], -v[12:13]
	v_mul_f64 v[30:31], v[6:7], s[16:17]
	v_mul_f64 v[22:23], v[22:23], s[18:19]
	v_fma_f64 v[46:47], v[24:25], s[8:9], v[10:11]
	v_fma_f64 v[26:27], v[26:27], s[26:27], v[2:3]
	v_add_f64 v[0:1], v[0:1], v[36:37]
	v_mul_f64 v[24:25], v[24:25], s[8:9]
	v_fma_f64 v[34:35], v[32:33], s[22:23], v[44:45]
	v_mul_f64 v[44:45], v[20:21], s[2:3]
	v_fma_f64 v[10:11], v[28:29], s[20:21], -v[10:11]
	v_add_f64 v[4:5], v[12:13], -v[4:5]
	v_mul_f64 v[12:13], v[48:49], s[2:3]
	v_add_f64 v[40:41], v[46:47], v[26:27]
	v_add_f64 v[46:47], v[16:17], -v[14:15]
	v_add_f64 v[14:15], v[14:15], v[18:19]
	v_mul_f64 v[18:19], v[8:9], s[8:9]
	v_fma_f64 v[36:37], v[36:37], s[26:27], v[0:1]
	v_fma_f64 v[8:9], v[8:9], s[8:9], v[30:31]
	v_fma_f64 v[38:39], v[38:39], s[24:25], -v[44:45]
	v_fma_f64 v[20:21], v[20:21], s[2:3], -v[42:43]
	v_add_f64 v[6:7], v[34:35], v[40:41]
	v_fma_f64 v[44:45], v[46:47], s[28:29], v[22:23]
	v_add_f64 v[14:15], v[14:15], v[16:17]
	v_fma_f64 v[16:17], v[28:29], s[10:11], -v[24:25]
	v_add_f64 v[28:29], v[10:11], v[26:27]
	v_fma_f64 v[10:11], v[4:5], s[20:21], -v[30:31]
	v_fma_f64 v[12:13], v[46:47], s[24:25], -v[12:13]
	;; [unrolled: 1-line block ×4, first 2 shown]
	v_fma_f64 v[24:25], v[32:33], s[22:23], v[38:39]
	v_fma_f64 v[20:21], v[32:33], s[22:23], v[20:21]
	v_add_f64 v[30:31], v[8:9], v[36:37]
	v_fma_f64 v[32:33], v[14:15], s[22:23], v[44:45]
	v_add_f64 v[16:17], v[16:17], v[26:27]
	v_add_f64 v[8:9], v[10:11], v[36:37]
	v_fma_f64 v[38:39], v[14:15], s[22:23], v[12:13]
	v_add_f64 v[4:5], v[4:5], v[36:37]
	v_fma_f64 v[12:13], v[14:15], s[22:23], v[18:19]
	v_add_f64 v[10:11], v[24:25], v[28:29]
	v_add_f64 v[22:23], v[28:29], -v[24:25]
	v_add_f64 v[26:27], v[40:41], -v[34:35]
	v_add_f64 v[24:25], v[32:33], v[30:31]
	v_add_f64 v[14:15], v[16:17], -v[20:21]
	v_add_f64 v[18:19], v[20:21], v[16:17]
	v_add_f64 v[20:21], v[38:39], v[8:9]
	v_add_f64 v[16:17], v[4:5], -v[12:13]
	v_add_f64 v[12:13], v[12:13], v[4:5]
	v_add_f64 v[8:9], v[8:9], -v[38:39]
	v_add_f64 v[4:5], v[30:31], -v[32:33]
	ds_write_b128 v118, v[0:3] offset:22848
	ds_write_b128 v118, v[24:27] offset:23936
	;; [unrolled: 1-line block ×7, first 2 shown]
.LBB0_21:
	s_or_b64 exec, exec, s[30:31]
	s_waitcnt vmcnt(0) lgkmcnt(0)
	s_barrier
	ds_read_b128 v[0:3], v73
	ds_read_b128 v[4:7], v73 offset:1904
	ds_read_b128 v[8:11], v73 offset:7616
	;; [unrolled: 1-line block ×13, first 2 shown]
	s_waitcnt lgkmcnt(11)
	v_mul_f64 v[64:65], v[116:117], v[10:11]
	v_mul_f64 v[66:67], v[116:117], v[8:9]
	s_waitcnt lgkmcnt(9)
	v_mul_f64 v[68:69], v[146:147], v[18:19]
	v_mul_f64 v[70:71], v[146:147], v[16:17]
	;; [unrolled: 3-line block ×3, first 2 shown]
	ds_read_b128 v[56:59], v73 offset:26656
	ds_read_b128 v[60:63], v73 offset:28560
	s_waitcnt lgkmcnt(5)
	v_mul_f64 v[78:79], v[190:191], v[42:43]
	v_fma_f64 v[8:9], v[114:115], v[8:9], v[64:65]
	v_fma_f64 v[10:11], v[114:115], v[10:11], -v[66:67]
	v_fma_f64 v[16:17], v[144:145], v[16:17], v[68:69]
	v_fma_f64 v[18:19], v[144:145], v[18:19], -v[70:71]
	;; [unrolled: 2-line block ×3, first 2 shown]
	v_mul_f64 v[64:65], v[158:159], v[14:15]
	v_mul_f64 v[66:67], v[158:159], v[12:13]
	;; [unrolled: 1-line block ×7, first 2 shown]
	v_add_f64 v[16:17], v[0:1], -v[16:17]
	v_fma_f64 v[12:13], v[156:157], v[12:13], v[64:65]
	v_fma_f64 v[14:15], v[156:157], v[14:15], -v[66:67]
	v_fma_f64 v[20:21], v[164:165], v[20:21], v[68:69]
	v_fma_f64 v[22:23], v[164:165], v[22:23], -v[70:71]
	;; [unrolled: 2-line block ×3, first 2 shown]
	s_waitcnt lgkmcnt(3)
	v_mul_f64 v[64:65], v[186:187], v[50:51]
	v_mul_f64 v[66:67], v[186:187], v[48:49]
	s_waitcnt lgkmcnt(1)
	v_mul_f64 v[68:69], v[178:179], v[58:59]
	v_mul_f64 v[70:71], v[178:179], v[56:57]
	v_add_f64 v[18:19], v[2:3], -v[18:19]
	v_add_f64 v[24:25], v[8:9], -v[24:25]
	;; [unrolled: 1-line block ×4, first 2 shown]
	v_fma_f64 v[48:49], v[184:185], v[48:49], v[64:65]
	v_fma_f64 v[50:51], v[184:185], v[50:51], -v[66:67]
	v_add_f64 v[64:65], v[4:5], -v[20:21]
	v_add_f64 v[66:67], v[6:7], -v[22:23]
	;; [unrolled: 1-line block ×3, first 2 shown]
	v_fma_f64 v[40:41], v[188:189], v[40:41], v[78:79]
	v_fma_f64 v[42:43], v[188:189], v[42:43], -v[80:81]
	v_mul_f64 v[74:75], v[194:195], v[46:47]
	v_mul_f64 v[76:77], v[194:195], v[44:45]
	;; [unrolled: 1-line block ×4, first 2 shown]
	v_fma_f64 v[56:57], v[176:177], v[56:57], v[68:69]
	v_fma_f64 v[58:59], v[176:177], v[58:59], -v[70:71]
	v_fma_f64 v[20:21], v[0:1], 2.0, -v[16:17]
	v_fma_f64 v[22:23], v[2:3], 2.0, -v[18:19]
	;; [unrolled: 1-line block ×8, first 2 shown]
	s_waitcnt lgkmcnt(0)
	v_mul_f64 v[12:13], v[182:183], v[62:63]
	v_mul_f64 v[14:15], v[182:183], v[60:61]
	v_fma_f64 v[44:45], v[192:193], v[44:45], v[74:75]
	v_fma_f64 v[46:47], v[192:193], v[46:47], -v[76:77]
	v_fma_f64 v[52:53], v[196:197], v[52:53], v[78:79]
	v_fma_f64 v[54:55], v[196:197], v[54:55], -v[80:81]
	v_add_f64 v[0:1], v[20:21], -v[0:1]
	v_add_f64 v[2:3], v[22:23], -v[2:3]
	;; [unrolled: 1-line block ×4, first 2 shown]
	v_fma_f64 v[60:61], v[180:181], v[60:61], v[12:13]
	v_fma_f64 v[62:63], v[180:181], v[62:63], -v[14:15]
	v_add_f64 v[74:75], v[36:37], -v[52:53]
	v_add_f64 v[76:77], v[38:39], -v[54:55]
	v_fma_f64 v[12:13], v[20:21], 2.0, -v[0:1]
	v_fma_f64 v[14:15], v[22:23], 2.0, -v[2:3]
	;; [unrolled: 1-line block ×4, first 2 shown]
	v_add_f64 v[68:69], v[32:33], -v[48:49]
	v_add_f64 v[70:71], v[34:35], -v[50:51]
	;; [unrolled: 1-line block ×6, first 2 shown]
	v_fma_f64 v[60:61], v[36:37], 2.0, -v[74:75]
	v_fma_f64 v[62:63], v[38:39], 2.0, -v[76:77]
	;; [unrolled: 1-line block ×8, first 2 shown]
	v_add_f64 v[4:5], v[16:17], v[26:27]
	v_add_f64 v[6:7], v[18:19], -v[24:25]
	v_add_f64 v[24:25], v[64:65], v[30:31]
	v_add_f64 v[26:27], v[66:67], -v[28:29]
	v_add_f64 v[32:33], v[56:57], -v[32:33]
	;; [unrolled: 1-line block ×3, first 2 shown]
	v_add_f64 v[36:37], v[68:69], v[50:51]
	v_add_f64 v[38:39], v[70:71], -v[48:49]
	v_add_f64 v[40:41], v[60:61], -v[40:41]
	;; [unrolled: 1-line block ×3, first 2 shown]
	v_add_f64 v[44:45], v[74:75], v[54:55]
	v_add_f64 v[46:47], v[76:77], -v[52:53]
	v_fma_f64 v[16:17], v[16:17], 2.0, -v[4:5]
	v_fma_f64 v[18:19], v[18:19], 2.0, -v[6:7]
	;; [unrolled: 1-line block ×12, first 2 shown]
	ds_write_b128 v73, v[12:15]
	ds_write_b128 v73, v[16:19] offset:7616
	ds_write_b128 v73, v[0:3] offset:15232
	;; [unrolled: 1-line block ×15, first 2 shown]
	s_waitcnt lgkmcnt(0)
	s_barrier
	s_and_b64 exec, exec, vcc
	s_cbranch_execz .LBB0_23
; %bb.22:
	global_load_dwordx4 v[0:3], v72, s[12:13]
	buffer_load_dword v22, off, s[60:63], 0 ; 4-byte Folded Reload
	buffer_load_dword v23, off, s[60:63], 0 offset:4 ; 4-byte Folded Reload
	ds_read_b128 v[4:7], v73
	v_mad_u64_u32 v[14:15], s[0:1], s4, v82, 0
	ds_read_b128 v[8:11], v72 offset:1792
	ds_read_b128 v[16:19], v72 offset:28672
	s_mul_i32 s3, s5, 0x700
	s_mul_i32 s2, s4, 0x700
	v_or_b32_e32 v28, 0x380, v82
	s_mul_i32 s8, s5, 0xe00
	s_movk_i32 s9, 0x4000
	s_waitcnt vmcnt(2) lgkmcnt(2)
	v_mul_f64 v[20:21], v[6:7], v[2:3]
	v_mul_f64 v[2:3], v[4:5], v[2:3]
	s_waitcnt vmcnt(1)
	v_mad_u64_u32 v[12:13], s[0:1], s6, v22, 0
	s_mul_hi_u32 s6, s4, 0x700
	s_add_i32 s3, s6, s3
	s_waitcnt vmcnt(0)
	v_mad_u64_u32 v[22:23], s[0:1], s7, v22, v[13:14]
	v_fma_f64 v[4:5], v[4:5], v[0:1], v[20:21]
	v_fma_f64 v[2:3], v[0:1], v[6:7], -v[2:3]
	s_waitcnt lgkmcnt(0)
	v_mad_u64_u32 v[23:24], s[0:1], s5, v82, v[15:16]
	s_mov_b32 s0, 0x1135c811
	s_mov_b32 s1, 0x3f4135c8
	v_mov_b32_e32 v13, v22
	v_lshlrev_b64 v[6:7], 4, v[12:13]
	v_mul_f64 v[0:1], v[4:5], s[0:1]
	v_mul_f64 v[2:3], v[2:3], s[0:1]
	v_mov_b32_e32 v15, v23
	v_mov_b32_e32 v20, s15
	v_lshlrev_b64 v[12:13], 4, v[14:15]
	v_add_co_u32_e32 v24, vcc, s14, v6
	v_addc_co_u32_e32 v25, vcc, v20, v7, vcc
	v_add_co_u32_e32 v4, vcc, v24, v12
	v_addc_co_u32_e32 v5, vcc, v25, v13, vcc
	global_store_dwordx4 v[4:5], v[0:3], off
	global_load_dwordx4 v[0:3], v72, s[12:13] offset:1792
	v_add_co_u32_e32 v12, vcc, s2, v4
	v_mov_b32_e32 v20, s13
	s_movk_i32 s6, 0x1000
	s_waitcnt vmcnt(0)
	v_mul_f64 v[6:7], v[10:11], v[2:3]
	v_mul_f64 v[2:3], v[8:9], v[2:3]
	v_fma_f64 v[6:7], v[8:9], v[0:1], v[6:7]
	v_fma_f64 v[2:3], v[0:1], v[10:11], -v[2:3]
	v_mul_f64 v[0:1], v[6:7], s[0:1]
	v_mul_f64 v[2:3], v[2:3], s[0:1]
	v_mov_b32_e32 v6, s3
	v_addc_co_u32_e32 v13, vcc, v5, v6, vcc
	v_add_co_u32_e32 v26, vcc, s12, v72
	v_addc_co_u32_e32 v27, vcc, 0, v20, vcc
	global_store_dwordx4 v[12:13], v[0:3], off
	global_load_dwordx4 v[0:3], v72, s[12:13] offset:3584
	ds_read_b128 v[4:7], v72 offset:3584
	ds_read_b128 v[8:11], v72 offset:5376
	s_waitcnt vmcnt(0) lgkmcnt(1)
	v_mul_f64 v[14:15], v[6:7], v[2:3]
	v_mul_f64 v[2:3], v[4:5], v[2:3]
	v_fma_f64 v[4:5], v[4:5], v[0:1], v[14:15]
	v_fma_f64 v[2:3], v[0:1], v[6:7], -v[2:3]
	v_mov_b32_e32 v7, s3
	v_mul_f64 v[0:1], v[4:5], s[0:1]
	v_mul_f64 v[2:3], v[2:3], s[0:1]
	v_add_co_u32_e32 v4, vcc, s6, v26
	v_addc_co_u32_e32 v5, vcc, 0, v27, vcc
	v_add_co_u32_e32 v6, vcc, s2, v12
	v_addc_co_u32_e32 v7, vcc, v13, v7, vcc
	global_store_dwordx4 v[6:7], v[0:3], off
	global_load_dwordx4 v[0:3], v[4:5], off offset:1280
	s_movk_i32 s6, 0x2000
	s_waitcnt vmcnt(0) lgkmcnt(0)
	v_mul_f64 v[12:13], v[10:11], v[2:3]
	v_mul_f64 v[2:3], v[8:9], v[2:3]
	v_fma_f64 v[8:9], v[8:9], v[0:1], v[12:13]
	v_fma_f64 v[2:3], v[0:1], v[10:11], -v[2:3]
	v_add_co_u32_e32 v12, vcc, s2, v6
	v_mul_f64 v[0:1], v[8:9], s[0:1]
	v_mul_f64 v[2:3], v[2:3], s[0:1]
	v_mov_b32_e32 v8, s3
	v_addc_co_u32_e32 v13, vcc, v7, v8, vcc
	global_store_dwordx4 v[12:13], v[0:3], off
	global_load_dwordx4 v[0:3], v[4:5], off offset:3072
	ds_read_b128 v[4:7], v72 offset:7168
	ds_read_b128 v[8:11], v72 offset:8960
	s_waitcnt vmcnt(0) lgkmcnt(1)
	v_mul_f64 v[14:15], v[6:7], v[2:3]
	v_mul_f64 v[2:3], v[4:5], v[2:3]
	v_fma_f64 v[4:5], v[4:5], v[0:1], v[14:15]
	v_fma_f64 v[2:3], v[0:1], v[6:7], -v[2:3]
	v_mov_b32_e32 v7, s3
	v_mul_f64 v[0:1], v[4:5], s[0:1]
	v_mul_f64 v[2:3], v[2:3], s[0:1]
	v_add_co_u32_e32 v4, vcc, s6, v26
	v_addc_co_u32_e32 v5, vcc, 0, v27, vcc
	v_add_co_u32_e32 v6, vcc, s2, v12
	v_addc_co_u32_e32 v7, vcc, v13, v7, vcc
	global_store_dwordx4 v[6:7], v[0:3], off
	global_load_dwordx4 v[0:3], v[4:5], off offset:768
	s_movk_i32 s6, 0x3000
	s_waitcnt vmcnt(0) lgkmcnt(0)
	v_mul_f64 v[12:13], v[10:11], v[2:3]
	v_mul_f64 v[2:3], v[8:9], v[2:3]
	v_fma_f64 v[8:9], v[8:9], v[0:1], v[12:13]
	v_fma_f64 v[2:3], v[0:1], v[10:11], -v[2:3]
	v_add_co_u32_e32 v12, vcc, s2, v6
	v_mul_f64 v[0:1], v[8:9], s[0:1]
	v_mul_f64 v[2:3], v[2:3], s[0:1]
	v_mov_b32_e32 v8, s3
	v_addc_co_u32_e32 v13, vcc, v7, v8, vcc
	global_store_dwordx4 v[12:13], v[0:3], off
	global_load_dwordx4 v[0:3], v[4:5], off offset:2560
	ds_read_b128 v[4:7], v72 offset:10752
	ds_read_b128 v[8:11], v72 offset:12544
	s_waitcnt vmcnt(0) lgkmcnt(1)
	v_mul_f64 v[14:15], v[6:7], v[2:3]
	v_mul_f64 v[2:3], v[4:5], v[2:3]
	v_fma_f64 v[4:5], v[4:5], v[0:1], v[14:15]
	v_fma_f64 v[2:3], v[0:1], v[6:7], -v[2:3]
	v_add_co_u32_e32 v14, vcc, s6, v26
	v_addc_co_u32_e32 v15, vcc, 0, v27, vcc
	v_mov_b32_e32 v6, s3
	v_mad_u64_u32 v[22:23], s[6:7], s4, v28, 0
	v_mul_f64 v[0:1], v[4:5], s[0:1]
	v_mul_f64 v[2:3], v[2:3], s[0:1]
	v_add_co_u32_e32 v4, vcc, s2, v12
	v_addc_co_u32_e32 v5, vcc, v13, v6, vcc
	v_add_co_u32_e32 v12, vcc, s2, v4
	global_store_dwordx4 v[4:5], v[0:3], off
	global_load_dwordx4 v[0:3], v[14:15], off offset:256
	s_waitcnt vmcnt(0) lgkmcnt(0)
	v_mul_f64 v[6:7], v[10:11], v[2:3]
	v_mul_f64 v[2:3], v[8:9], v[2:3]
	v_fma_f64 v[6:7], v[8:9], v[0:1], v[6:7]
	v_fma_f64 v[2:3], v[0:1], v[10:11], -v[2:3]
	v_mul_f64 v[0:1], v[6:7], s[0:1]
	v_mul_f64 v[2:3], v[2:3], s[0:1]
	v_mov_b32_e32 v7, s3
	v_addc_co_u32_e32 v13, vcc, v5, v7, vcc
	v_lshlrev_b32_e32 v6, 4, v28
	global_store_dwordx4 v[12:13], v[0:3], off
	global_load_dwordx4 v[0:3], v6, s[12:13]
	ds_read_b128 v[4:7], v72 offset:14336
	ds_read_b128 v[8:11], v72 offset:16128
	s_waitcnt vmcnt(0) lgkmcnt(1)
	v_mul_f64 v[20:21], v[6:7], v[2:3]
	v_mul_f64 v[2:3], v[4:5], v[2:3]
	v_fma_f64 v[4:5], v[4:5], v[0:1], v[20:21]
	v_fma_f64 v[2:3], v[0:1], v[6:7], -v[2:3]
	v_mov_b32_e32 v0, v23
	v_mad_u64_u32 v[6:7], s[6:7], s5, v28, v[0:1]
	v_mov_b32_e32 v23, v6
	v_mul_f64 v[0:1], v[4:5], s[0:1]
	v_mul_f64 v[2:3], v[2:3], s[0:1]
	v_lshlrev_b64 v[4:5], 4, v[22:23]
	v_mov_b32_e32 v6, 0xe00
	v_add_co_u32_e32 v4, vcc, v24, v4
	v_addc_co_u32_e32 v5, vcc, v25, v5, vcc
	v_mad_u64_u32 v[12:13], s[6:7], s4, v6, v[12:13]
	global_store_dwordx4 v[4:5], v[0:3], off
	global_load_dwordx4 v[0:3], v[14:15], off offset:3840
	v_add_co_u32_e32 v14, vcc, s9, v26
	v_add_u32_e32 v13, s8, v13
	v_addc_co_u32_e32 v15, vcc, 0, v27, vcc
	s_movk_i32 s6, 0x5000
	s_waitcnt vmcnt(0) lgkmcnt(0)
	v_mul_f64 v[4:5], v[10:11], v[2:3]
	v_mul_f64 v[2:3], v[8:9], v[2:3]
	v_fma_f64 v[4:5], v[8:9], v[0:1], v[4:5]
	v_fma_f64 v[2:3], v[0:1], v[10:11], -v[2:3]
	v_mul_f64 v[0:1], v[4:5], s[0:1]
	v_mul_f64 v[2:3], v[2:3], s[0:1]
	global_store_dwordx4 v[12:13], v[0:3], off
	global_load_dwordx4 v[0:3], v[14:15], off offset:1536
	ds_read_b128 v[4:7], v72 offset:17920
	ds_read_b128 v[8:11], v72 offset:19712
	s_waitcnt vmcnt(0) lgkmcnt(1)
	v_mul_f64 v[20:21], v[6:7], v[2:3]
	v_mul_f64 v[2:3], v[4:5], v[2:3]
	v_fma_f64 v[4:5], v[4:5], v[0:1], v[20:21]
	v_fma_f64 v[2:3], v[0:1], v[6:7], -v[2:3]
	v_mul_f64 v[0:1], v[4:5], s[0:1]
	v_mul_f64 v[2:3], v[2:3], s[0:1]
	v_mov_b32_e32 v5, s3
	v_add_co_u32_e32 v4, vcc, s2, v12
	v_addc_co_u32_e32 v5, vcc, v13, v5, vcc
	v_add_co_u32_e32 v12, vcc, s6, v26
	global_store_dwordx4 v[4:5], v[0:3], off
	global_load_dwordx4 v[0:3], v[14:15], off offset:3328
	v_addc_co_u32_e32 v13, vcc, 0, v27, vcc
	v_add_co_u32_e32 v14, vcc, s2, v4
	s_movk_i32 s6, 0x6000
	s_waitcnt vmcnt(0) lgkmcnt(0)
	v_mul_f64 v[6:7], v[10:11], v[2:3]
	v_mul_f64 v[2:3], v[8:9], v[2:3]
	v_fma_f64 v[6:7], v[8:9], v[0:1], v[6:7]
	v_fma_f64 v[2:3], v[0:1], v[10:11], -v[2:3]
	v_mov_b32_e32 v8, s3
	v_addc_co_u32_e32 v15, vcc, v5, v8, vcc
	v_mul_f64 v[0:1], v[6:7], s[0:1]
	v_mul_f64 v[2:3], v[2:3], s[0:1]
	global_store_dwordx4 v[14:15], v[0:3], off
	global_load_dwordx4 v[0:3], v[12:13], off offset:1024
	ds_read_b128 v[4:7], v72 offset:21504
	ds_read_b128 v[8:11], v72 offset:23296
	s_waitcnt vmcnt(0) lgkmcnt(1)
	v_mul_f64 v[20:21], v[6:7], v[2:3]
	v_mul_f64 v[2:3], v[4:5], v[2:3]
	v_fma_f64 v[4:5], v[4:5], v[0:1], v[20:21]
	v_fma_f64 v[2:3], v[0:1], v[6:7], -v[2:3]
	v_mul_f64 v[0:1], v[4:5], s[0:1]
	v_mul_f64 v[2:3], v[2:3], s[0:1]
	v_mov_b32_e32 v5, s3
	v_add_co_u32_e32 v4, vcc, s2, v14
	v_addc_co_u32_e32 v5, vcc, v15, v5, vcc
	global_store_dwordx4 v[4:5], v[0:3], off
	global_load_dwordx4 v[0:3], v[12:13], off offset:2816
	v_add_co_u32_e32 v12, vcc, s6, v26
	v_addc_co_u32_e32 v13, vcc, 0, v27, vcc
	v_add_co_u32_e32 v14, vcc, s2, v4
	s_waitcnt vmcnt(0) lgkmcnt(0)
	v_mul_f64 v[6:7], v[10:11], v[2:3]
	v_mul_f64 v[2:3], v[8:9], v[2:3]
	v_fma_f64 v[6:7], v[8:9], v[0:1], v[6:7]
	v_fma_f64 v[2:3], v[0:1], v[10:11], -v[2:3]
	v_mov_b32_e32 v8, s3
	v_addc_co_u32_e32 v15, vcc, v5, v8, vcc
	v_mul_f64 v[0:1], v[6:7], s[0:1]
	v_mul_f64 v[2:3], v[2:3], s[0:1]
	global_store_dwordx4 v[14:15], v[0:3], off
	global_load_dwordx4 v[0:3], v[12:13], off offset:512
	ds_read_b128 v[4:7], v72 offset:25088
	ds_read_b128 v[8:11], v72 offset:26880
	s_waitcnt vmcnt(0) lgkmcnt(1)
	v_mul_f64 v[20:21], v[6:7], v[2:3]
	v_mul_f64 v[2:3], v[4:5], v[2:3]
	v_fma_f64 v[4:5], v[4:5], v[0:1], v[20:21]
	v_fma_f64 v[2:3], v[0:1], v[6:7], -v[2:3]
	v_mul_f64 v[0:1], v[4:5], s[0:1]
	v_mul_f64 v[2:3], v[2:3], s[0:1]
	v_mov_b32_e32 v5, s3
	v_add_co_u32_e32 v4, vcc, s2, v14
	v_addc_co_u32_e32 v5, vcc, v15, v5, vcc
	global_store_dwordx4 v[4:5], v[0:3], off
	global_load_dwordx4 v[0:3], v[12:13], off offset:2304
	v_add_co_u32_e32 v4, vcc, s2, v4
	s_waitcnt vmcnt(0) lgkmcnt(0)
	v_mul_f64 v[6:7], v[10:11], v[2:3]
	v_mul_f64 v[2:3], v[8:9], v[2:3]
	v_fma_f64 v[6:7], v[8:9], v[0:1], v[6:7]
	v_fma_f64 v[2:3], v[0:1], v[10:11], -v[2:3]
	v_or_b32_e32 v8, 0x700, v82
	v_mul_f64 v[0:1], v[6:7], s[0:1]
	v_mul_f64 v[2:3], v[2:3], s[0:1]
	v_mov_b32_e32 v7, s3
	v_addc_co_u32_e32 v5, vcc, v5, v7, vcc
	v_lshlrev_b32_e32 v6, 4, v8
	global_store_dwordx4 v[4:5], v[0:3], off
	global_load_dwordx4 v[0:3], v6, s[12:13]
	v_mad_u64_u32 v[6:7], s[2:3], s4, v8, 0
	s_waitcnt vmcnt(0)
	v_mul_f64 v[4:5], v[18:19], v[2:3]
	v_mul_f64 v[2:3], v[16:17], v[2:3]
	v_fma_f64 v[4:5], v[16:17], v[0:1], v[4:5]
	v_fma_f64 v[2:3], v[0:1], v[18:19], -v[2:3]
	v_mov_b32_e32 v0, v7
	v_mad_u64_u32 v[7:8], s[2:3], s5, v8, v[0:1]
	v_mul_f64 v[0:1], v[4:5], s[0:1]
	v_mul_f64 v[2:3], v[2:3], s[0:1]
	v_lshlrev_b64 v[4:5], 4, v[6:7]
	v_add_co_u32_e32 v4, vcc, v24, v4
	v_addc_co_u32_e32 v5, vcc, v25, v5, vcc
	global_store_dwordx4 v[4:5], v[0:3], off
.LBB0_23:
	s_endpgm
	.section	.rodata,"a",@progbits
	.p2align	6, 0x0
	.amdhsa_kernel bluestein_single_back_len1904_dim1_dp_op_CI_CI
		.amdhsa_group_segment_fixed_size 30464
		.amdhsa_private_segment_fixed_size 868
		.amdhsa_kernarg_size 104
		.amdhsa_user_sgpr_count 6
		.amdhsa_user_sgpr_private_segment_buffer 1
		.amdhsa_user_sgpr_dispatch_ptr 0
		.amdhsa_user_sgpr_queue_ptr 0
		.amdhsa_user_sgpr_kernarg_segment_ptr 1
		.amdhsa_user_sgpr_dispatch_id 0
		.amdhsa_user_sgpr_flat_scratch_init 0
		.amdhsa_user_sgpr_private_segment_size 0
		.amdhsa_uses_dynamic_stack 0
		.amdhsa_system_sgpr_private_segment_wavefront_offset 1
		.amdhsa_system_sgpr_workgroup_id_x 1
		.amdhsa_system_sgpr_workgroup_id_y 0
		.amdhsa_system_sgpr_workgroup_id_z 0
		.amdhsa_system_sgpr_workgroup_info 0
		.amdhsa_system_vgpr_workitem_id 0
		.amdhsa_next_free_vgpr 256
		.amdhsa_next_free_sgpr 64
		.amdhsa_reserve_vcc 1
		.amdhsa_reserve_flat_scratch 0
		.amdhsa_float_round_mode_32 0
		.amdhsa_float_round_mode_16_64 0
		.amdhsa_float_denorm_mode_32 3
		.amdhsa_float_denorm_mode_16_64 3
		.amdhsa_dx10_clamp 1
		.amdhsa_ieee_mode 1
		.amdhsa_fp16_overflow 0
		.amdhsa_exception_fp_ieee_invalid_op 0
		.amdhsa_exception_fp_denorm_src 0
		.amdhsa_exception_fp_ieee_div_zero 0
		.amdhsa_exception_fp_ieee_overflow 0
		.amdhsa_exception_fp_ieee_underflow 0
		.amdhsa_exception_fp_ieee_inexact 0
		.amdhsa_exception_int_div_zero 0
	.end_amdhsa_kernel
	.text
.Lfunc_end0:
	.size	bluestein_single_back_len1904_dim1_dp_op_CI_CI, .Lfunc_end0-bluestein_single_back_len1904_dim1_dp_op_CI_CI
                                        ; -- End function
	.section	.AMDGPU.csdata,"",@progbits
; Kernel info:
; codeLenInByte = 35300
; NumSgprs: 68
; NumVgprs: 256
; ScratchSize: 868
; MemoryBound: 0
; FloatMode: 240
; IeeeMode: 1
; LDSByteSize: 30464 bytes/workgroup (compile time only)
; SGPRBlocks: 8
; VGPRBlocks: 63
; NumSGPRsForWavesPerEU: 68
; NumVGPRsForWavesPerEU: 256
; Occupancy: 1
; WaveLimiterHint : 1
; COMPUTE_PGM_RSRC2:SCRATCH_EN: 1
; COMPUTE_PGM_RSRC2:USER_SGPR: 6
; COMPUTE_PGM_RSRC2:TRAP_HANDLER: 0
; COMPUTE_PGM_RSRC2:TGID_X_EN: 1
; COMPUTE_PGM_RSRC2:TGID_Y_EN: 0
; COMPUTE_PGM_RSRC2:TGID_Z_EN: 0
; COMPUTE_PGM_RSRC2:TIDIG_COMP_CNT: 0
	.type	__hip_cuid_38ae2a228e05202f,@object ; @__hip_cuid_38ae2a228e05202f
	.section	.bss,"aw",@nobits
	.globl	__hip_cuid_38ae2a228e05202f
__hip_cuid_38ae2a228e05202f:
	.byte	0                               ; 0x0
	.size	__hip_cuid_38ae2a228e05202f, 1

	.ident	"AMD clang version 19.0.0git (https://github.com/RadeonOpenCompute/llvm-project roc-6.4.0 25133 c7fe45cf4b819c5991fe208aaa96edf142730f1d)"
	.section	".note.GNU-stack","",@progbits
	.addrsig
	.addrsig_sym __hip_cuid_38ae2a228e05202f
	.amdgpu_metadata
---
amdhsa.kernels:
  - .args:
      - .actual_access:  read_only
        .address_space:  global
        .offset:         0
        .size:           8
        .value_kind:     global_buffer
      - .actual_access:  read_only
        .address_space:  global
        .offset:         8
        .size:           8
        .value_kind:     global_buffer
      - .actual_access:  read_only
        .address_space:  global
        .offset:         16
        .size:           8
        .value_kind:     global_buffer
      - .actual_access:  read_only
        .address_space:  global
        .offset:         24
        .size:           8
        .value_kind:     global_buffer
      - .actual_access:  read_only
        .address_space:  global
        .offset:         32
        .size:           8
        .value_kind:     global_buffer
      - .offset:         40
        .size:           8
        .value_kind:     by_value
      - .address_space:  global
        .offset:         48
        .size:           8
        .value_kind:     global_buffer
      - .address_space:  global
        .offset:         56
        .size:           8
        .value_kind:     global_buffer
      - .address_space:  global
        .offset:         64
        .size:           8
        .value_kind:     global_buffer
      - .address_space:  global
        .offset:         72
        .size:           8
        .value_kind:     global_buffer
      - .offset:         80
        .size:           4
        .value_kind:     by_value
      - .address_space:  global
        .offset:         88
        .size:           8
        .value_kind:     global_buffer
      - .address_space:  global
        .offset:         96
        .size:           8
        .value_kind:     global_buffer
    .group_segment_fixed_size: 30464
    .kernarg_segment_align: 8
    .kernarg_segment_size: 104
    .language:       OpenCL C
    .language_version:
      - 2
      - 0
    .max_flat_workgroup_size: 119
    .name:           bluestein_single_back_len1904_dim1_dp_op_CI_CI
    .private_segment_fixed_size: 868
    .sgpr_count:     68
    .sgpr_spill_count: 0
    .symbol:         bluestein_single_back_len1904_dim1_dp_op_CI_CI.kd
    .uniform_work_group_size: 1
    .uses_dynamic_stack: false
    .vgpr_count:     256
    .vgpr_spill_count: 232
    .wavefront_size: 64
amdhsa.target:   amdgcn-amd-amdhsa--gfx906
amdhsa.version:
  - 1
  - 2
...

	.end_amdgpu_metadata
